;; amdgpu-corpus repo=ROCm/rocFFT kind=compiled arch=gfx1100 opt=O3
	.text
	.amdgcn_target "amdgcn-amd-amdhsa--gfx1100"
	.amdhsa_code_object_version 6
	.protected	bluestein_single_fwd_len1950_dim1_sp_op_CI_CI ; -- Begin function bluestein_single_fwd_len1950_dim1_sp_op_CI_CI
	.globl	bluestein_single_fwd_len1950_dim1_sp_op_CI_CI
	.p2align	8
	.type	bluestein_single_fwd_len1950_dim1_sp_op_CI_CI,@function
bluestein_single_fwd_len1950_dim1_sp_op_CI_CI: ; @bluestein_single_fwd_len1950_dim1_sp_op_CI_CI
; %bb.0:
	s_load_b128 s[4:7], s[0:1], 0x28
	v_mul_u32_u24_e32 v1, 0x151, v0
	s_mov_b32 s2, exec_lo
	v_mov_b32_e32 v73, 0
	s_delay_alu instid0(VALU_DEP_2) | instskip(NEXT) | instid1(VALU_DEP_1)
	v_lshrrev_b32_e32 v1, 16, v1
	v_add_nc_u32_e32 v72, s15, v1
	s_waitcnt lgkmcnt(0)
	s_delay_alu instid0(VALU_DEP_1)
	v_cmpx_gt_u64_e64 s[4:5], v[72:73]
	s_cbranch_execz .LBB0_23
; %bb.1:
	s_clause 0x1
	s_load_b64 s[14:15], s[0:1], 0x0
	s_load_b64 s[12:13], s[0:1], 0x38
	v_mul_lo_u16 v1, 0xc3, v1
	s_delay_alu instid0(VALU_DEP_1) | instskip(NEXT) | instid1(VALU_DEP_1)
	v_sub_nc_u16 v0, v0, v1
	v_and_b32_e32 v84, 0xffff, v0
	v_cmp_gt_u16_e32 vcc_lo, 0x96, v0
	s_delay_alu instid0(VALU_DEP_2)
	v_lshlrev_b32_e32 v83, 3, v84
	s_and_saveexec_b32 s3, vcc_lo
	s_cbranch_execz .LBB0_3
; %bb.2:
	s_load_b64 s[4:5], s[0:1], 0x18
	s_waitcnt lgkmcnt(0)
	v_add_co_u32 v18, s2, s14, v83
	s_delay_alu instid0(VALU_DEP_1)
	v_add_co_ci_u32_e64 v19, null, s15, 0, s2
	v_add_nc_u32_e32 v54, 0x1000, v83
	s_load_b128 s[8:11], s[4:5], 0x0
	s_waitcnt lgkmcnt(0)
	v_mad_u64_u32 v[0:1], null, s10, v72, 0
	v_mad_u64_u32 v[2:3], null, s8, v84, 0
	s_mul_i32 s4, s9, 0x4b0
	s_mul_hi_u32 s5, s8, 0x4b0
	s_delay_alu instid0(SALU_CYCLE_1) | instskip(NEXT) | instid1(VALU_DEP_1)
	s_add_i32 s5, s5, s4
	v_mad_u64_u32 v[4:5], null, s11, v72, v[1:2]
	s_clause 0x3
	global_load_b64 v[5:6], v83, s[14:15]
	global_load_b64 v[7:8], v83, s[14:15] offset:1200
	global_load_b64 v[9:10], v83, s[14:15] offset:2400
	;; [unrolled: 1-line block ×3, first 2 shown]
	v_mad_u64_u32 v[13:14], null, s9, v84, v[3:4]
	v_mov_b32_e32 v1, v4
	v_add_co_u32 v14, s2, 0x1000, v18
	s_delay_alu instid0(VALU_DEP_1)
	v_add_co_ci_u32_e64 v15, s2, 0, v19, s2
	v_add_co_u32 v16, s2, 0x2000, v18
	v_mov_b32_e32 v3, v13
	v_lshlrev_b64 v[0:1], 3, v[0:1]
	v_add_co_ci_u32_e64 v17, s2, 0, v19, s2
	v_add_co_u32 v18, s2, 0x3000, v18
	s_delay_alu instid0(VALU_DEP_1) | instskip(SKIP_2) | instid1(VALU_DEP_1)
	v_add_co_ci_u32_e64 v19, s2, 0, v19, s2
	v_lshlrev_b64 v[2:3], 3, v[2:3]
	v_add_co_u32 v0, s2, s6, v0
	v_add_co_ci_u32_e64 v1, s2, s7, v1, s2
	s_mul_i32 s6, s8, 0x4b0
	s_delay_alu instid0(VALU_DEP_2) | instskip(NEXT) | instid1(VALU_DEP_1)
	v_add_co_u32 v0, s2, v0, v2
	v_add_co_ci_u32_e64 v1, s2, v1, v3, s2
	s_clause 0x2
	global_load_b64 v[20:21], v[14:15], off offset:704
	global_load_b64 v[22:23], v[14:15], off offset:1904
	;; [unrolled: 1-line block ×3, first 2 shown]
	v_add_co_u32 v2, s2, v0, s6
	s_delay_alu instid0(VALU_DEP_1)
	v_add_co_ci_u32_e64 v3, s2, s5, v1, s2
	s_clause 0x3
	global_load_b64 v[26:27], v[16:17], off offset:208
	global_load_b64 v[28:29], v[16:17], off offset:1408
	;; [unrolled: 1-line block ×4, first 2 shown]
	v_add_co_u32 v24, s2, v2, s6
	s_delay_alu instid0(VALU_DEP_1) | instskip(SKIP_2) | instid1(VALU_DEP_1)
	v_add_co_ci_u32_e64 v25, s2, s5, v3, s2
	global_load_b64 v[0:1], v[0:1], off
	v_add_co_u32 v32, s2, v24, s6
	v_add_co_ci_u32_e64 v33, s2, s5, v25, s2
	s_delay_alu instid0(VALU_DEP_2) | instskip(NEXT) | instid1(VALU_DEP_1)
	v_add_co_u32 v34, s2, v32, s6
	v_add_co_ci_u32_e64 v35, s2, s5, v33, s2
	s_clause 0x2
	global_load_b64 v[2:3], v[2:3], off
	global_load_b64 v[24:25], v[24:25], off
	;; [unrolled: 1-line block ×3, first 2 shown]
	v_add_co_u32 v36, s2, v34, s6
	s_delay_alu instid0(VALU_DEP_1) | instskip(SKIP_2) | instid1(VALU_DEP_1)
	v_add_co_ci_u32_e64 v37, s2, s5, v35, s2
	global_load_b64 v[34:35], v[34:35], off
	v_add_co_u32 v38, s2, v36, s6
	v_add_co_ci_u32_e64 v39, s2, s5, v37, s2
	global_load_b64 v[36:37], v[36:37], off
	v_add_co_u32 v40, s2, v38, s6
	s_delay_alu instid0(VALU_DEP_1) | instskip(SKIP_2) | instid1(VALU_DEP_1)
	v_add_co_ci_u32_e64 v41, s2, s5, v39, s2
	global_load_b64 v[38:39], v[38:39], off
	v_add_co_u32 v42, s2, v40, s6
	v_add_co_ci_u32_e64 v43, s2, s5, v41, s2
	global_load_b64 v[40:41], v[40:41], off
	;; [unrolled: 7-line block ×4, first 2 shown]
	s_clause 0x1
	global_load_b64 v[52:53], v[18:19], off offset:912
	global_load_b64 v[17:18], v[18:19], off offset:2112
	global_load_b64 v[50:51], v[50:51], off
	v_add_nc_u32_e32 v19, 0x800, v83
	v_add_nc_u32_e32 v55, 0x1c00, v83
	;; [unrolled: 1-line block ×3, first 2 shown]
	s_waitcnt vmcnt(14)
	v_mul_f32_e32 v4, v1, v6
	v_dual_mul_f32 v56, v0, v6 :: v_dual_add_nc_u32 v57, 0x2400, v83
	s_delay_alu instid0(VALU_DEP_2) | instskip(NEXT) | instid1(VALU_DEP_2)
	v_fmac_f32_e32 v4, v0, v5
	v_fma_f32 v5, v1, v5, -v56
	s_waitcnt vmcnt(13)
	v_mul_f32_e32 v6, v3, v8
	s_waitcnt vmcnt(12)
	v_dual_mul_f32 v1, v2, v8 :: v_dual_mul_f32 v0, v25, v10
	v_mul_f32_e32 v8, v24, v10
	s_waitcnt vmcnt(11)
	v_mul_f32_e32 v10, v32, v12
	v_fmac_f32_e32 v6, v2, v7
	v_mul_f32_e32 v2, v33, v12
	v_fma_f32 v7, v3, v7, -v1
	v_fmac_f32_e32 v0, v24, v9
	v_fma_f32 v1, v25, v9, -v8
	v_fma_f32 v3, v33, v11, -v10
	v_fmac_f32_e32 v2, v32, v11
	s_waitcnt vmcnt(10)
	v_mul_f32_e32 v8, v35, v21
	ds_store_2addr_b64 v83, v[4:5], v[6:7] offset1:150
	s_waitcnt vmcnt(9)
	v_dual_mul_f32 v9, v34, v21 :: v_dual_mul_f32 v4, v37, v23
	ds_store_2addr_b64 v19, v[0:1], v[2:3] offset0:44 offset1:194
	v_mul_f32_e32 v1, v36, v23
	s_waitcnt vmcnt(8)
	v_mul_f32_e32 v3, v38, v14
	v_mul_f32_e32 v0, v39, v14
	v_fma_f32 v9, v35, v20, -v9
	v_fmac_f32_e32 v4, v36, v22
	s_waitcnt vmcnt(7)
	v_mul_f32_e32 v7, v40, v27
	v_mul_f32_e32 v2, v41, v27
	v_fmac_f32_e32 v8, v34, v20
	v_fma_f32 v5, v37, v22, -v1
	v_fma_f32 v1, v39, v13, -v3
	s_waitcnt vmcnt(6)
	v_mul_f32_e32 v6, v43, v29
	v_fma_f32 v3, v41, v26, -v7
	v_mul_f32_e32 v7, v42, v29
	v_fmac_f32_e32 v0, v38, v13
	v_fmac_f32_e32 v2, v40, v26
	s_waitcnt vmcnt(5)
	v_mul_f32_e32 v11, v44, v31
	v_mul_f32_e32 v10, v45, v31
	v_fmac_f32_e32 v6, v42, v28
	v_fma_f32 v7, v43, v28, -v7
	s_waitcnt vmcnt(4)
	v_mul_f32_e32 v12, v47, v16
	v_dual_mul_f32 v13, v46, v16 :: v_dual_fmac_f32 v10, v44, v30
	s_waitcnt vmcnt(2)
	v_mul_f32_e32 v14, v49, v53
	s_waitcnt vmcnt(0)
	v_dual_mul_f32 v19, v48, v53 :: v_dual_mul_f32 v16, v51, v18
	v_mul_f32_e32 v18, v50, v18
	v_fma_f32 v11, v45, v30, -v11
	v_fmac_f32_e32 v12, v46, v15
	v_fma_f32 v13, v47, v15, -v13
	v_fmac_f32_e32 v14, v48, v52
	;; [unrolled: 2-line block ×3, first 2 shown]
	v_fma_f32 v17, v51, v17, -v18
	ds_store_2addr_b64 v54, v[8:9], v[4:5] offset0:88 offset1:238
	ds_store_2addr_b64 v55, v[0:1], v[2:3] offset0:4 offset1:154
	;; [unrolled: 1-line block ×4, first 2 shown]
	ds_store_b64 v83, v[16:17] offset:14400
.LBB0_3:
	s_or_b32 exec_lo, exec_lo, s3
	s_clause 0x1
	s_load_b64 s[4:5], s[0:1], 0x20
	s_load_b64 s[2:3], s[0:1], 0x8
	v_mov_b32_e32 v0, 0
	v_mov_b32_e32 v1, 0
                                        ; kill: def $vgpr2 killed $sgpr0 killed $exec
	s_waitcnt lgkmcnt(0)
	s_barrier
	buffer_gl0_inv
                                        ; implicit-def: $vgpr14
                                        ; implicit-def: $vgpr8
                                        ; implicit-def: $vgpr4
                                        ; implicit-def: $vgpr24
                                        ; implicit-def: $vgpr18
                                        ; implicit-def: $vgpr22
	s_and_saveexec_b32 s0, vcc_lo
	s_cbranch_execz .LBB0_5
; %bb.4:
	v_add_nc_u32_e32 v4, 0x800, v83
	v_add_nc_u32_e32 v5, 0x1000, v83
	;; [unrolled: 1-line block ×5, first 2 shown]
	ds_load_2addr_b64 v[0:3], v83 offset1:150
	ds_load_2addr_b64 v[20:23], v4 offset0:44 offset1:194
	ds_load_2addr_b64 v[16:19], v5 offset0:88 offset1:238
	;; [unrolled: 1-line block ×5, first 2 shown]
	ds_load_b64 v[24:25], v83 offset:14400
.LBB0_5:
	s_or_b32 exec_lo, exec_lo, s0
	s_waitcnt lgkmcnt(0)
	v_dual_sub_f32 v69, v3, v25 :: v_dual_sub_f32 v76, v2, v24
	v_dual_add_f32 v26, v24, v2 :: v_dual_add_f32 v27, v25, v3
	v_dual_sub_f32 v82, v22, v4 :: v_dual_sub_f32 v87, v16, v10
	s_delay_alu instid0(VALU_DEP_3) | instskip(SKIP_2) | instid1(VALU_DEP_3)
	v_dual_mul_f32 v46, 0xbf52af12, v69 :: v_dual_mul_f32 v47, 0xbf52af12, v76
	v_mul_f32_e32 v39, 0xbeedf032, v76
	v_dual_mul_f32 v62, 0xbf7e222b, v76 :: v_dual_sub_f32 v77, v21, v7
	v_fmamk_f32 v30, v26, 0x3f116cb1, v46
	v_mul_f32_e32 v37, 0xbeedf032, v69
	v_fma_f32 v31, 0x3f116cb1, v27, -v47
	v_fma_f32 v29, 0x3f62ad3f, v27, -v39
	v_dual_sub_f32 v78, v20, v6 :: v_dual_mul_f32 v51, 0xbf6f5d39, v77
	v_add_f32_e32 v30, v30, v0
	s_delay_alu instid0(VALU_DEP_4) | instskip(SKIP_3) | instid1(VALU_DEP_4)
	v_dual_fmamk_f32 v28, v26, 0x3f62ad3f, v37 :: v_dual_add_f32 v31, v31, v1
	v_mul_f32_e32 v60, 0xbf7e222b, v69
	v_add_f32_e32 v34, v29, v1
	v_add_f32_e32 v29, v7, v21
	v_dual_add_f32 v33, v28, v0 :: v_dual_mul_f32 v52, 0xbf6f5d39, v78
	s_delay_alu instid0(VALU_DEP_4) | instskip(SKIP_1) | instid1(VALU_DEP_3)
	v_dual_sub_f32 v81, v23, v5 :: v_dual_fmamk_f32 v32, v26, 0x3df6dbef, v60
	v_dual_mul_f32 v41, 0xbf52af12, v78 :: v_dual_add_f32 v28, v6, v20
	v_fma_f32 v43, 0xbeb58ec6, v29, -v52
	v_mul_f32_e32 v40, 0xbf52af12, v77
	s_delay_alu instid0(VALU_DEP_4) | instskip(NEXT) | instid1(VALU_DEP_4)
	v_add_f32_e32 v32, v32, v0
	v_fma_f32 v38, 0x3f116cb1, v29, -v41
	v_fma_f32 v35, 0x3df6dbef, v27, -v62
	v_dual_mul_f32 v64, 0xbe750f2a, v77 :: v_dual_mul_f32 v57, 0xbe750f2a, v82
	s_delay_alu instid0(VALU_DEP_3)
	v_dual_sub_f32 v85, v17, v11 :: v_dual_add_f32 v34, v38, v34
	v_dual_mul_f32 v55, 0xbe750f2a, v81 :: v_dual_add_f32 v38, v43, v31
	v_mul_f32_e32 v43, 0xbf7e222b, v82
	v_dual_add_f32 v31, v5, v23 :: v_dual_fmamk_f32 v36, v28, 0x3f116cb1, v40
	v_dual_add_f32 v35, v35, v1 :: v_dual_mul_f32 v66, 0xbe750f2a, v78
	v_mul_f32_e32 v61, 0x3f29c268, v85
	s_delay_alu instid0(VALU_DEP_3) | instskip(NEXT) | instid1(VALU_DEP_4)
	v_fma_f32 v45, 0x3df6dbef, v31, -v43
	v_add_f32_e32 v33, v36, v33
	v_dual_sub_f32 v92, v19, v9 :: v_dual_sub_f32 v95, v12, v14
	s_delay_alu instid0(VALU_DEP_3) | instskip(SKIP_2) | instid1(VALU_DEP_4)
	v_add_f32_e32 v34, v45, v34
	v_mul_f32_e32 v70, 0x3f6f5d39, v81
	v_fmamk_f32 v42, v28, 0xbeb58ec6, v51
	v_mul_f32_e32 v88, 0xbf52af12, v92
	v_mul_f32_e32 v45, 0xbf6f5d39, v87
	;; [unrolled: 1-line block ×3, first 2 shown]
	s_barrier
	v_add_f32_e32 v36, v42, v30
	v_fmamk_f32 v30, v28, 0xbf788fa5, v64
	v_mul_f32_e32 v42, 0xbf7e222b, v81
	v_fma_f32 v53, 0xbeb58ec6, v31, -v71
	buffer_gl0_inv
	v_dual_mul_f32 v63, 0x3f29c268, v87 :: v_dual_add_f32 v48, v30, v32
	v_fma_f32 v32, 0xbf788fa5, v29, -v66
	v_dual_add_f32 v30, v4, v22 :: v_dual_mul_f32 v79, 0x3eedf032, v85
	v_sub_f32_e32 v93, v18, v8
	v_mul_f32_e32 v67, 0x3f7e222b, v92
	s_delay_alu instid0(VALU_DEP_4) | instskip(SKIP_4) | instid1(VALU_DEP_4)
	v_add_f32_e32 v35, v32, v35
	v_fma_f32 v32, 0xbf788fa5, v31, -v57
	v_mul_f32_e32 v91, 0xbf29c268, v95
	v_mul_f32_e32 v68, 0x3f7e222b, v93
	;; [unrolled: 1-line block ×3, first 2 shown]
	v_add_f32_e32 v38, v32, v38
	v_fmamk_f32 v44, v30, 0x3df6dbef, v42
	v_fmamk_f32 v49, v30, 0xbf788fa5, v55
	v_add_f32_e32 v32, v10, v16
	s_delay_alu instid0(VALU_DEP_3) | instskip(SKIP_4) | instid1(VALU_DEP_4)
	v_add_f32_e32 v50, v44, v33
	v_add_f32_e32 v33, v11, v17
	v_mul_f32_e32 v44, 0xbf6f5d39, v85
	v_add_f32_e32 v36, v49, v36
	v_fmamk_f32 v56, v32, 0xbf3f9e67, v61
	v_fma_f32 v54, 0xbeb58ec6, v33, -v45
	s_delay_alu instid0(VALU_DEP_1) | instskip(SKIP_1) | instid1(VALU_DEP_1)
	v_add_f32_e32 v59, v54, v34
	v_dual_fmamk_f32 v49, v30, 0xbeb58ec6, v70 :: v_dual_add_f32 v34, v8, v18
	v_dual_add_f32 v48, v49, v48 :: v_dual_fmamk_f32 v49, v32, 0xbeb58ec6, v44
	s_delay_alu instid0(VALU_DEP_2) | instskip(NEXT) | instid1(VALU_DEP_2)
	v_fmamk_f32 v75, v34, 0x3df6dbef, v67
	v_dual_add_f32 v49, v49, v50 :: v_dual_mul_f32 v50, 0xbf29c268, v92
	s_delay_alu instid0(VALU_DEP_1) | instskip(SKIP_3) | instid1(VALU_DEP_4)
	v_fmamk_f32 v54, v34, 0xbf3f9e67, v50
	v_add_f32_e32 v58, v53, v35
	v_fma_f32 v35, 0xbf3f9e67, v33, -v63
	v_mul_f32_e32 v53, 0xbf29c268, v93
	v_add_f32_e32 v49, v54, v49
	s_delay_alu instid0(VALU_DEP_3) | instskip(SKIP_2) | instid1(VALU_DEP_2)
	v_add_f32_e32 v73, v35, v38
	v_add_f32_e32 v35, v9, v19
	v_dual_add_f32 v65, v56, v36 :: v_dual_mul_f32 v56, 0xbe750f2a, v95
	v_fma_f32 v74, 0xbf3f9e67, v35, -v53
	s_delay_alu instid0(VALU_DEP_2) | instskip(SKIP_1) | instid1(VALU_DEP_3)
	v_dual_add_f32 v86, v75, v65 :: v_dual_mul_f32 v75, 0x3eedf032, v95
	v_fma_f32 v98, 0x3f116cb1, v35, -v90
	v_add_f32_e32 v59, v74, v59
	v_fma_f32 v74, 0x3df6dbef, v35, -v68
	s_delay_alu instid0(VALU_DEP_1) | instskip(NEXT) | instid1(VALU_DEP_1)
	v_dual_fmamk_f32 v36, v32, 0x3f62ad3f, v79 :: v_dual_add_f32 v97, v74, v73
	v_add_f32_e32 v48, v36, v48
	v_add_f32_e32 v36, v14, v12
	v_sub_f32_e32 v94, v13, v15
	v_mul_f32_e32 v80, 0x3eedf032, v87
	v_fmamk_f32 v74, v34, 0x3f116cb1, v88
	s_delay_alu instid0(VALU_DEP_3) | instskip(NEXT) | instid1(VALU_DEP_3)
	v_mul_f32_e32 v65, 0x3eedf032, v94
	v_fma_f32 v38, 0x3f62ad3f, v33, -v80
	v_mul_f32_e32 v54, 0xbe750f2a, v94
	s_delay_alu instid0(VALU_DEP_4) | instskip(NEXT) | instid1(VALU_DEP_2)
	v_add_f32_e32 v100, v74, v48
	v_dual_add_f32 v58, v38, v58 :: v_dual_fmamk_f32 v89, v36, 0xbf788fa5, v54
	s_delay_alu instid0(VALU_DEP_1) | instskip(SKIP_2) | instid1(VALU_DEP_2)
	v_dual_add_f32 v98, v98, v58 :: v_dual_add_f32 v73, v89, v49
	v_dual_fmamk_f32 v49, v36, 0x3f62ad3f, v65 :: v_dual_add_f32 v38, v15, v13
	v_mul_f32_e32 v89, 0xbf29c268, v94
	v_add_f32_e32 v48, v49, v86
	s_delay_alu instid0(VALU_DEP_3) | instskip(SKIP_1) | instid1(VALU_DEP_4)
	v_fma_f32 v96, 0xbf788fa5, v38, -v56
	v_fma_f32 v99, 0x3f62ad3f, v38, -v75
	v_fmamk_f32 v58, v36, 0xbf3f9e67, v89
	v_fma_f32 v101, 0xbf3f9e67, v38, -v91
	v_mul_lo_u16 v86, v84, 13
	s_delay_alu instid0(VALU_DEP_4) | instskip(NEXT) | instid1(VALU_DEP_3)
	v_dual_add_f32 v74, v96, v59 :: v_dual_add_f32 v49, v99, v97
	v_dual_add_f32 v58, v58, v100 :: v_dual_add_f32 v59, v101, v98
	s_and_saveexec_b32 s0, vcc_lo
	s_cbranch_execz .LBB0_7
; %bb.6:
	v_mul_f32_e32 v104, 0xbe750f2a, v69
	v_mul_f32_e32 v105, 0x3eedf032, v77
	;; [unrolled: 1-line block ×3, first 2 shown]
	v_dual_mul_f32 v117, 0x3f7e222b, v77 :: v_dual_mul_f32 v118, 0x3f7e222b, v94
	s_delay_alu instid0(VALU_DEP_4)
	v_fma_f32 v109, 0xbf788fa5, v26, -v104
	v_mul_f32_e32 v100, 0xbf29c268, v82
	v_fma_f32 v111, 0x3f62ad3f, v28, -v105
	v_fma_f32 v113, 0xbf3f9e67, v30, -v106
	;; [unrolled: 1-line block ×3, first 2 shown]
	v_add_f32_e32 v109, v109, v0
	v_mul_f32_e32 v98, 0xbe750f2a, v76
	v_fmamk_f32 v108, v31, 0xbf3f9e67, v100
	v_dual_mul_f32 v123, 0x3eedf032, v93 :: v_dual_mul_f32 v124, 0x3eedf032, v92
	s_delay_alu instid0(VALU_DEP_4) | instskip(NEXT) | instid1(VALU_DEP_4)
	v_add_f32_e32 v109, v111, v109
	v_fmamk_f32 v96, v27, 0xbf788fa5, v98
	v_dual_mul_f32 v115, 0xbf52af12, v82 :: v_dual_mul_f32 v120, 0xbf52af12, v81
	s_delay_alu instid0(VALU_DEP_3) | instskip(NEXT) | instid1(VALU_DEP_3)
	v_dual_fmamk_f32 v126, v35, 0x3f62ad3f, v123 :: v_dual_add_f32 v109, v113, v109
	v_dual_mul_f32 v99, 0x3eedf032, v78 :: v_dual_add_f32 v96, v96, v1
	v_mul_f32_e32 v111, 0x3f7e222b, v78
	v_mul_f32_e32 v128, 0x3f29c268, v77
	v_mul_f32_e32 v127, 0xbf6f5d39, v76
	s_delay_alu instid0(VALU_DEP_4) | instskip(SKIP_3) | instid1(VALU_DEP_4)
	v_fmamk_f32 v97, v29, 0x3f62ad3f, v99
	v_mul_f32_e32 v101, 0x3f52af12, v87
	v_fmamk_f32 v113, v29, 0x3df6dbef, v111
	v_fma_f32 v129, 0xbf3f9e67, v28, -v128
	v_dual_mul_f32 v121, 0x3e750f2a, v87 :: v_dual_add_f32 v96, v97, v96
	v_mul_f32_e32 v103, 0x3f7e222b, v95
	v_fmamk_f32 v97, v33, 0x3f116cb1, v101
	v_dual_mul_f32 v82, 0x3eedf032, v82 :: v_dual_mul_f32 v81, 0x3eedf032, v81
	s_delay_alu instid0(VALU_DEP_4) | instskip(NEXT) | instid1(VALU_DEP_4)
	v_add_f32_e32 v96, v108, v96
	v_fmamk_f32 v122, v38, 0x3df6dbef, v103
	v_mul_f32_e32 v102, 0xbf6f5d39, v93
	v_mul_f32_e32 v93, 0x3e750f2a, v93
	;; [unrolled: 1-line block ×3, first 2 shown]
	v_add_f32_e32 v96, v97, v96
	v_fma_f32 v125, 0x3df6dbef, v36, -v118
	v_fmamk_f32 v112, v35, 0xbeb58ec6, v102
	v_fmamk_f32 v132, v35, 0xbf788fa5, v93
	v_dual_fmac_f32 v118, 0x3df6dbef, v36 :: v_dual_add_f32 v3, v3, v1
	v_fmac_f32_e32 v105, 0x3f62ad3f, v28
	s_delay_alu instid0(VALU_DEP_4) | instskip(SKIP_3) | instid1(VALU_DEP_3)
	v_add_f32_e32 v96, v112, v96
	v_mul_f32_e32 v112, 0xbf29c268, v69
	v_fmac_f32_e32 v117, 0x3df6dbef, v28
	v_add_f32_e32 v21, v21, v3
	v_fma_f32 v116, 0xbf3f9e67, v26, -v112
	v_mul_f32_e32 v107, 0x3f52af12, v85
	s_delay_alu instid0(VALU_DEP_2) | instskip(NEXT) | instid1(VALU_DEP_2)
	v_dual_add_f32 v21, v23, v21 :: v_dual_add_f32 v116, v116, v0
	v_fma_f32 v114, 0x3f116cb1, v32, -v107
	v_mul_f32_e32 v110, 0xbf6f5d39, v92
	s_delay_alu instid0(VALU_DEP_3) | instskip(SKIP_1) | instid1(VALU_DEP_4)
	v_dual_mul_f32 v92, 0x3e750f2a, v92 :: v_dual_add_f32 v17, v17, v21
	v_fmac_f32_e32 v107, 0x3f116cb1, v32
	v_add_f32_e32 v109, v114, v109
	s_delay_alu instid0(VALU_DEP_4) | instskip(NEXT) | instid1(VALU_DEP_4)
	v_fma_f32 v114, 0xbeb58ec6, v34, -v110
	v_dual_fmac_f32 v110, 0xbeb58ec6, v34 :: v_dual_add_f32 v17, v19, v17
	s_delay_alu instid0(VALU_DEP_2) | instskip(SKIP_4) | instid1(VALU_DEP_4)
	v_dual_add_f32 v109, v114, v109 :: v_dual_add_f32 v114, v119, v116
	v_fma_f32 v116, 0x3f116cb1, v30, -v120
	v_fmamk_f32 v97, v27, 0xbf3f9e67, v108
	v_mul_f32_e32 v119, 0x3e750f2a, v85
	v_mul_f32_e32 v87, 0xbf7e222b, v87
	v_dual_mul_f32 v85, 0xbf7e222b, v85 :: v_dual_add_f32 v114, v116, v114
	s_delay_alu instid0(VALU_DEP_4) | instskip(NEXT) | instid1(VALU_DEP_4)
	v_add_f32_e32 v97, v97, v1
	v_fma_f32 v116, 0xbf788fa5, v32, -v119
	s_delay_alu instid0(VALU_DEP_1) | instskip(NEXT) | instid1(VALU_DEP_3)
	v_dual_add_f32 v13, v13, v17 :: v_dual_add_f32 v114, v116, v114
	v_add_f32_e32 v97, v113, v97
	v_fmamk_f32 v113, v31, 0x3f116cb1, v115
	v_fma_f32 v116, 0x3f62ad3f, v34, -v124
	s_delay_alu instid0(VALU_DEP_4) | instskip(NEXT) | instid1(VALU_DEP_3)
	v_add_f32_e32 v13, v15, v13
	v_add_f32_e32 v97, v113, v97
	v_fmamk_f32 v113, v33, 0xbf788fa5, v121
	s_delay_alu instid0(VALU_DEP_3) | instskip(NEXT) | instid1(VALU_DEP_2)
	v_add_f32_e32 v9, v9, v13
	v_add_f32_e32 v113, v113, v97
	v_dual_add_f32 v97, v122, v96 :: v_dual_mul_f32 v122, 0xbf6f5d39, v95
	v_fmamk_f32 v96, v27, 0xbeb58ec6, v127
	v_mul_f32_e32 v95, 0x3f52af12, v95
	v_add_f32_e32 v9, v11, v9
	s_delay_alu instid0(VALU_DEP_3) | instskip(SKIP_2) | instid1(VALU_DEP_4)
	v_add_f32_e32 v77, v96, v1
	v_dual_add_f32 v76, v126, v113 :: v_dual_add_f32 v113, v116, v114
	v_mul_f32_e32 v114, 0xbf6f5d39, v69
	v_dual_mul_f32 v116, 0x3f29c268, v78 :: v_dual_add_f32 v5, v5, v9
	v_fmac_f32_e32 v104, 0xbf788fa5, v26
	s_delay_alu instid0(VALU_DEP_3) | instskip(NEXT) | instid1(VALU_DEP_3)
	v_fma_f32 v78, 0xbeb58ec6, v26, -v114
	v_dual_fmamk_f32 v96, v29, 0xbf3f9e67, v116 :: v_dual_add_f32 v5, v7, v5
	s_delay_alu instid0(VALU_DEP_1) | instskip(SKIP_3) | instid1(VALU_DEP_4)
	v_dual_add_f32 v78, v78, v0 :: v_dual_add_f32 v77, v96, v77
	v_fmamk_f32 v96, v31, 0x3f62ad3f, v82
	v_mul_f32_e32 v126, 0xbf6f5d39, v94
	v_mul_f32_e32 v94, 0x3f52af12, v94
	v_add_f32_e32 v78, v129, v78
	v_fma_f32 v129, 0x3f62ad3f, v30, -v81
	v_dual_add_f32 v77, v96, v77 :: v_dual_fmamk_f32 v96, v33, 0x3df6dbef, v87
	v_fma_f32 v130, 0xbeb58ec6, v36, -v126
	v_fmac_f32_e32 v126, 0xbeb58ec6, v36
	s_delay_alu instid0(VALU_DEP_4) | instskip(SKIP_4) | instid1(VALU_DEP_4)
	v_add_f32_e32 v78, v129, v78
	v_fma_f32 v129, 0x3df6dbef, v32, -v85
	v_fmamk_f32 v69, v38, 0xbeb58ec6, v122
	v_add_f32_e32 v131, v96, v77
	v_dual_add_f32 v96, v125, v109 :: v_dual_mul_f32 v109, 0x3df6dbef, v27
	v_add_f32_e32 v78, v129, v78
	v_fma_f32 v129, 0xbf788fa5, v34, -v92
	v_dual_add_f32 v77, v69, v76 :: v_dual_add_f32 v76, v130, v113
	v_mul_f32_e32 v125, 0xbf788fa5, v29
	v_dual_mul_f32 v113, 0x3df6dbef, v26 :: v_dual_add_f32 v62, v62, v109
	s_delay_alu instid0(VALU_DEP_4) | instskip(NEXT) | instid1(VALU_DEP_3)
	v_dual_add_f32 v78, v129, v78 :: v_dual_mul_f32 v129, 0xbf788fa5, v28
	v_add_f32_e32 v66, v66, v125
	s_delay_alu instid0(VALU_DEP_3) | instskip(NEXT) | instid1(VALU_DEP_4)
	v_dual_fmamk_f32 v109, v38, 0x3f116cb1, v95 :: v_dual_sub_f32 v60, v113, v60
	v_dual_add_f32 v62, v62, v1 :: v_dual_mul_f32 v113, 0xbeb58ec6, v31
	s_delay_alu instid0(VALU_DEP_4) | instskip(NEXT) | instid1(VALU_DEP_3)
	v_dual_sub_f32 v64, v129, v64 :: v_dual_mul_f32 v125, 0xbeb58ec6, v30
	v_add_f32_e32 v60, v60, v0
	s_delay_alu instid0(VALU_DEP_3) | instskip(NEXT) | instid1(VALU_DEP_4)
	v_add_f32_e32 v62, v66, v62
	v_add_f32_e32 v66, v71, v113
	v_mul_f32_e32 v71, 0x3f62ad3f, v33
	v_dual_add_f32 v69, v132, v131 :: v_dual_fmac_f32 v112, 0xbf3f9e67, v26
	v_fmac_f32_e32 v92, 0xbf788fa5, v34
	s_delay_alu instid0(VALU_DEP_4) | instskip(NEXT) | instid1(VALU_DEP_4)
	v_add_f32_e32 v62, v66, v62
	v_add_f32_e32 v66, v80, v71
	v_dual_mul_f32 v71, 0x3f116cb1, v35 :: v_dual_add_f32 v60, v64, v60
	v_fmac_f32_e32 v119, 0xbf788fa5, v32
	v_fmac_f32_e32 v81, 0x3f62ad3f, v30
	s_delay_alu instid0(VALU_DEP_4) | instskip(NEXT) | instid1(VALU_DEP_4)
	v_add_f32_e32 v62, v66, v62
	v_dual_add_f32 v66, v90, v71 :: v_dual_mul_f32 v71, 0xbf3f9e67, v36
	s_delay_alu instid0(VALU_DEP_1) | instskip(NEXT) | instid1(VALU_DEP_2)
	v_add_f32_e32 v62, v66, v62
	v_dual_sub_f32 v66, v71, v89 :: v_dual_mul_f32 v71, 0x3f116cb1, v27
	v_sub_f32_e32 v64, v125, v70
	s_delay_alu instid0(VALU_DEP_2) | instskip(NEXT) | instid1(VALU_DEP_2)
	v_dual_mul_f32 v70, 0x3f62ad3f, v32 :: v_dual_add_f32 v47, v47, v71
	v_add_f32_e32 v60, v64, v60
	s_delay_alu instid0(VALU_DEP_2) | instskip(SKIP_2) | instid1(VALU_DEP_3)
	v_sub_f32_e32 v64, v70, v79
	v_dual_add_f32 v70, v109, v69 :: v_dual_mul_f32 v69, 0x3f116cb1, v34
	v_fma_f32 v79, 0x3f116cb1, v36, -v94
	v_dual_add_f32 v47, v47, v1 :: v_dual_add_f32 v60, v64, v60
	s_delay_alu instid0(VALU_DEP_3) | instskip(SKIP_2) | instid1(VALU_DEP_3)
	v_dual_mul_f32 v64, 0xbf3f9e67, v38 :: v_dual_sub_f32 v69, v69, v88
	v_fmac_f32_e32 v128, 0xbf3f9e67, v28
	v_fmac_f32_e32 v94, 0x3f116cb1, v36
	v_add_f32_e32 v64, v91, v64
	s_delay_alu instid0(VALU_DEP_4) | instskip(NEXT) | instid1(VALU_DEP_1)
	v_dual_add_f32 v60, v69, v60 :: v_dual_add_f32 v69, v79, v78
	v_add_f32_e32 v78, v66, v60
	v_mul_f32_e32 v60, 0xbeb58ec6, v29
	s_delay_alu instid0(VALU_DEP_1) | instskip(SKIP_1) | instid1(VALU_DEP_2)
	v_add_f32_e32 v52, v52, v60
	v_mul_f32_e32 v60, 0xbf788fa5, v31
	v_add_f32_e32 v47, v52, v47
	s_delay_alu instid0(VALU_DEP_2) | instskip(NEXT) | instid1(VALU_DEP_1)
	v_dual_add_f32 v57, v57, v60 :: v_dual_mul_f32 v52, 0xbf788fa5, v30
	v_add_f32_e32 v47, v57, v47
	v_mul_f32_e32 v57, 0xbf3f9e67, v32
	s_delay_alu instid0(VALU_DEP_1) | instskip(SKIP_3) | instid1(VALU_DEP_2)
	v_sub_f32_e32 v57, v57, v61
	v_add_f32_e32 v79, v64, v62
	v_mul_f32_e32 v62, 0x3f116cb1, v26
	v_mul_f32_e32 v64, 0xbeb58ec6, v28
	v_dual_mul_f32 v61, 0x3df6dbef, v31 :: v_dual_sub_f32 v46, v62, v46
	s_delay_alu instid0(VALU_DEP_2) | instskip(SKIP_1) | instid1(VALU_DEP_3)
	v_sub_f32_e32 v51, v64, v51
	v_mul_f32_e32 v64, 0x3f62ad3f, v27
	v_add_f32_e32 v46, v46, v0
	s_delay_alu instid0(VALU_DEP_2) | instskip(NEXT) | instid1(VALU_DEP_2)
	v_dual_add_f32 v39, v39, v64 :: v_dual_sub_f32 v52, v52, v55
	v_dual_mul_f32 v55, 0x3f116cb1, v29 :: v_dual_add_f32 v46, v51, v46
	v_mul_f32_e32 v51, 0xbf3f9e67, v33
	s_delay_alu instid0(VALU_DEP_3) | instskip(NEXT) | instid1(VALU_DEP_3)
	v_dual_add_f32 v23, v39, v1 :: v_dual_add_f32 v64, v2, v0
	v_dual_add_f32 v39, v41, v55 :: v_dual_add_f32 v46, v52, v46
	s_delay_alu instid0(VALU_DEP_3) | instskip(SKIP_1) | instid1(VALU_DEP_4)
	v_add_f32_e32 v51, v63, v51
	v_mul_f32_e32 v52, 0x3df6dbef, v35
	v_dual_mul_f32 v41, 0xbf788fa5, v38 :: v_dual_add_f32 v20, v20, v64
	s_delay_alu instid0(VALU_DEP_3) | instskip(NEXT) | instid1(VALU_DEP_3)
	v_dual_add_f32 v46, v57, v46 :: v_dual_add_f32 v47, v51, v47
	v_dual_add_f32 v52, v68, v52 :: v_dual_mul_f32 v51, 0x3df6dbef, v34
	v_mul_f32_e32 v57, 0x3f62ad3f, v38
	v_mul_f32_e32 v62, 0x3f62ad3f, v26
	s_delay_alu instid0(VALU_DEP_3) | instskip(NEXT) | instid1(VALU_DEP_4)
	v_dual_add_f32 v20, v22, v20 :: v_dual_add_f32 v47, v52, v47
	v_dual_mul_f32 v52, 0x3f62ad3f, v36 :: v_dual_sub_f32 v51, v51, v67
	v_mul_f32_e32 v67, 0xbeb58ec6, v33
	v_dual_add_f32 v57, v75, v57 :: v_dual_mul_f32 v66, 0xbeb58ec6, v32
	v_dual_sub_f32 v21, v62, v37 :: v_dual_add_f32 v22, v39, v23
	v_add_f32_e32 v23, v43, v61
	v_add_f32_e32 v46, v51, v46
	s_delay_alu instid0(VALU_DEP_3) | instskip(SKIP_1) | instid1(VALU_DEP_4)
	v_dual_sub_f32 v52, v52, v65 :: v_dual_add_f32 v19, v21, v0
	v_add_f32_e32 v17, v45, v67
	v_dual_add_f32 v21, v23, v22 :: v_dual_mul_f32 v60, 0x3f116cb1, v28
	s_delay_alu instid0(VALU_DEP_3) | instskip(SKIP_1) | instid1(VALU_DEP_3)
	v_dual_add_f32 v3, v57, v47 :: v_dual_add_f32 v2, v52, v46
	v_mul_f32_e32 v63, 0x3df6dbef, v30
	v_dual_add_f32 v15, v17, v21 :: v_dual_add_f32 v16, v16, v20
	s_delay_alu instid0(VALU_DEP_4) | instskip(SKIP_1) | instid1(VALU_DEP_3)
	v_dual_sub_f32 v20, v60, v40 :: v_dual_mul_f32 v51, 0xbf3f9e67, v34
	v_mul_f32_e32 v46, 0xbf788fa5, v36
	v_dual_mul_f32 v65, 0xbf3f9e67, v35 :: v_dual_add_f32 v16, v18, v16
	s_delay_alu instid0(VALU_DEP_3) | instskip(NEXT) | instid1(VALU_DEP_2)
	v_dual_add_f32 v18, v20, v19 :: v_dual_sub_f32 v13, v66, v44
	v_dual_sub_f32 v19, v63, v42 :: v_dual_add_f32 v12, v12, v16
	s_delay_alu instid0(VALU_DEP_1) | instskip(NEXT) | instid1(VALU_DEP_1)
	v_dual_add_f32 v17, v19, v18 :: v_dual_add_f32 v12, v14, v12
	v_dual_add_f32 v16, v53, v65 :: v_dual_add_f32 v11, v8, v12
	s_delay_alu instid0(VALU_DEP_2) | instskip(NEXT) | instid1(VALU_DEP_2)
	v_dual_add_f32 v12, v13, v17 :: v_dual_sub_f32 v13, v51, v50
	v_add_f32_e32 v9, v10, v11
	s_delay_alu instid0(VALU_DEP_2) | instskip(SKIP_4) | instid1(VALU_DEP_4)
	v_dual_add_f32 v14, v16, v15 :: v_dual_add_f32 v11, v13, v12
	v_add_f32_e32 v15, v56, v41
	v_fma_f32 v10, 0xbf788fa5, v27, -v98
	v_sub_f32_e32 v12, v46, v54
	v_add_f32_e32 v4, v4, v9
	v_dual_add_f32 v5, v25, v5 :: v_dual_add_f32 v8, v15, v14
	s_delay_alu instid0(VALU_DEP_4)
	v_add_f32_e32 v9, v10, v1
	v_fma_f32 v10, 0x3f62ad3f, v29, -v99
	v_add_f32_e32 v7, v12, v11
	v_fma_f32 v11, 0xbf3f9e67, v27, -v108
	;; [unrolled: 2-line block ×4, first 2 shown]
	v_dual_add_f32 v10, v104, v0 :: v_dual_add_f32 v11, v11, v1
	v_and_b32_e32 v14, 0xffff, v86
	v_fma_f32 v15, 0x3f116cb1, v38, -v95
	s_delay_alu instid0(VALU_DEP_4)
	v_add_f32_e32 v6, v9, v6
	v_fma_f32 v9, 0x3f116cb1, v33, -v101
	v_add_f32_e32 v11, v12, v11
	v_fma_f32 v12, 0x3f116cb1, v31, -v115
	v_add_f32_e32 v10, v105, v10
	v_lshlrev_b32_e32 v14, 3, v14
	v_add_f32_e32 v6, v9, v6
	v_fma_f32 v9, 0xbeb58ec6, v35, -v102
	v_add_f32_e32 v11, v12, v11
	v_fma_f32 v12, 0xbf788fa5, v33, -v121
	s_delay_alu instid0(VALU_DEP_1) | instskip(NEXT) | instid1(VALU_DEP_1)
	v_dual_fmac_f32 v106, 0xbf3f9e67, v30 :: v_dual_add_f32 v11, v12, v11
	v_add_f32_e32 v10, v106, v10
	v_add_f32_e32 v4, v24, v4
	v_fma_f32 v12, 0x3f62ad3f, v35, -v123
	v_add_f32_e32 v6, v9, v6
	v_fma_f32 v9, 0x3df6dbef, v38, -v103
	v_add_f32_e32 v13, v107, v10
	s_delay_alu instid0(VALU_DEP_2) | instskip(NEXT) | instid1(VALU_DEP_2)
	v_dual_add_f32 v11, v12, v11 :: v_dual_add_f32 v10, v9, v6
	v_add_f32_e32 v6, v110, v13
	s_delay_alu instid0(VALU_DEP_1) | instskip(SKIP_1) | instid1(VALU_DEP_1)
	v_add_f32_e32 v9, v118, v6
	v_fma_f32 v6, 0xbeb58ec6, v27, -v127
	v_add_f32_e32 v1, v6, v1
	v_fma_f32 v6, 0xbf3f9e67, v29, -v116
	s_delay_alu instid0(VALU_DEP_1) | instskip(SKIP_2) | instid1(VALU_DEP_2)
	v_add_f32_e32 v1, v6, v1
	v_fma_f32 v6, 0x3f62ad3f, v31, -v82
	v_add_f32_e32 v13, v112, v0
	v_add_f32_e32 v1, v6, v1
	s_delay_alu instid0(VALU_DEP_2) | instskip(SKIP_3) | instid1(VALU_DEP_3)
	v_add_f32_e32 v12, v117, v13
	v_fma_f32 v6, 0x3df6dbef, v33, -v87
	v_fmac_f32_e32 v114, 0xbeb58ec6, v26
	v_fma_f32 v13, 0xbeb58ec6, v38, -v122
	v_dual_fmac_f32 v120, 0x3f116cb1, v30 :: v_dual_add_f32 v1, v6, v1
	s_delay_alu instid0(VALU_DEP_3) | instskip(SKIP_2) | instid1(VALU_DEP_3)
	v_add_f32_e32 v0, v114, v0
	v_fma_f32 v6, 0xbf788fa5, v35, -v93
	v_fmac_f32_e32 v85, 0x3df6dbef, v32
	v_add_f32_e32 v0, v128, v0
	s_delay_alu instid0(VALU_DEP_3) | instskip(SKIP_1) | instid1(VALU_DEP_3)
	v_dual_add_f32 v6, v6, v1 :: v_dual_add_f32 v1, v13, v11
	v_add_f32_e32 v12, v120, v12
	v_add_f32_e32 v0, v81, v0
	s_delay_alu instid0(VALU_DEP_2) | instskip(NEXT) | instid1(VALU_DEP_2)
	v_add_f32_e32 v12, v119, v12
	v_add_f32_e32 v0, v85, v0
	s_delay_alu instid0(VALU_DEP_1) | instskip(NEXT) | instid1(VALU_DEP_1)
	v_add_f32_e32 v16, v92, v0
	v_dual_fmac_f32 v124, 0x3f62ad3f, v34 :: v_dual_add_f32 v11, v94, v16
	s_delay_alu instid0(VALU_DEP_1) | instskip(NEXT) | instid1(VALU_DEP_1)
	v_add_f32_e32 v12, v124, v12
	v_add_f32_e32 v0, v126, v12
	v_add_f32_e32 v12, v15, v6
	ds_store_2addr_b64 v14, v[4:5], v[7:8] offset1:1
	ds_store_2addr_b64 v14, v[2:3], v[78:79] offset0:2 offset1:3
	ds_store_2addr_b64 v14, v[69:70], v[76:77] offset0:4 offset1:5
	;; [unrolled: 1-line block ×5, first 2 shown]
	ds_store_b64 v14, v[73:74] offset:96
.LBB0_7:
	s_or_b32 exec_lo, exec_lo, s0
	v_and_b32_e32 v16, 0xff, v84
	v_add_co_u32 v32, s0, 0xc3, v84
	s_load_b128 s[4:7], s[4:5], 0x0
	s_waitcnt lgkmcnt(0)
	s_delay_alu instid0(VALU_DEP_2)
	v_mul_lo_u16 v0, 0x4f, v16
	s_barrier
	buffer_gl0_inv
	v_mul_lo_u16 v16, 0xfd, v16
	v_add_co_ci_u32_e64 v33, null, 0, 0, s0
	v_lshrrev_b16 v28, 10, v0
	v_cmp_gt_u16_e64 s0, 0x41, v84
	s_delay_alu instid0(VALU_DEP_4) | instskip(NEXT) | instid1(VALU_DEP_3)
	v_lshrrev_b16 v41, 14, v16
	v_mul_lo_u16 v1, v28, 13
	s_delay_alu instid0(VALU_DEP_2) | instskip(NEXT) | instid1(VALU_DEP_2)
	v_mul_lo_u16 v36, 0x41, v41
	v_sub_nc_u16 v1, v84, v1
	s_delay_alu instid0(VALU_DEP_2) | instskip(NEXT) | instid1(VALU_DEP_2)
	v_sub_nc_u16 v36, v84, v36
	v_and_b32_e32 v38, 0xff, v1
	s_delay_alu instid0(VALU_DEP_1)
	v_lshlrev_b32_e32 v1, 5, v38
	s_clause 0x1
	global_load_b128 v[12:15], v1, s[2:3]
	global_load_b128 v[4:7], v1, s[2:3] offset:16
	v_and_b32_e32 v0, 0xffff, v32
	v_and_b32_e32 v17, 0xffff, v84
	s_delay_alu instid0(VALU_DEP_2) | instskip(NEXT) | instid1(VALU_DEP_2)
	v_mul_u32_u24_e32 v0, 0x4ec5, v0
	v_lshlrev_b32_e32 v85, 3, v17
	s_delay_alu instid0(VALU_DEP_2) | instskip(NEXT) | instid1(VALU_DEP_2)
	v_lshrrev_b32_e32 v34, 18, v0
	v_add_nc_u32_e32 v40, 0xc00, v85
	v_add_nc_u32_e32 v42, 0x1800, v85
	;; [unrolled: 1-line block ×3, first 2 shown]
	s_delay_alu instid0(VALU_DEP_4) | instskip(NEXT) | instid1(VALU_DEP_1)
	v_mul_lo_u16 v0, v34, 13
	v_sub_nc_u16 v35, v32, v0
	s_delay_alu instid0(VALU_DEP_1) | instskip(SKIP_1) | instid1(VALU_DEP_2)
	v_lshlrev_b16 v0, 2, v35
	v_mad_u16 v34, 0x41, v34, v35
	v_and_b32_e32 v0, 0xffff, v0
	s_delay_alu instid0(VALU_DEP_1)
	v_lshlrev_b32_e32 v0, 3, v0
	s_clause 0x1
	global_load_b128 v[8:11], v0, s[2:3]
	global_load_b128 v[0:3], v0, s[2:3] offset:16
	ds_load_2addr_b64 v[16:19], v40 offset0:6 offset1:201
	ds_load_2addr_b64 v[20:23], v42 offset0:12 offset1:207
	ds_load_2addr_b64 v[24:27], v46 offset0:18 offset1:213
	v_and_b32_e32 v37, 0xffff, v28
	v_and_b32_e32 v50, 0xff, v36
	s_waitcnt vmcnt(3) lgkmcnt(2)
	v_mul_f32_e32 v44, v16, v13
	v_add_nc_u32_e32 v47, 0x3000, v85
	s_waitcnt lgkmcnt(1)
	v_mul_f32_e32 v45, v21, v15
	s_waitcnt vmcnt(2) lgkmcnt(0)
	v_dual_mul_f32 v52, v25, v5 :: v_dual_mul_f32 v51, v20, v15
	v_fmac_f32_e32 v44, v17, v12
	ds_load_2addr_b64 v[28:31], v47 offset0:24 offset1:219
	v_and_b32_e32 v43, 0xffff, v34
	v_mul_f32_e32 v53, v24, v5
	v_fmac_f32_e32 v51, v21, v14
	s_delay_alu instid0(VALU_DEP_3)
	v_lshlrev_b32_e32 v87, 3, v43
	v_mul_f32_e32 v43, v17, v13
	v_fma_f32 v17, v20, v14, -v45
	v_fma_f32 v20, v24, v4, -v52
	v_fmac_f32_e32 v53, v25, v4
	v_sub_f32_e32 v71, v44, v51
	v_fma_f32 v16, v16, v12, -v43
	s_delay_alu instid0(VALU_DEP_3) | instskip(SKIP_1) | instid1(VALU_DEP_3)
	v_dual_add_f32 v57, v17, v20 :: v_dual_add_f32 v68, v51, v53
	v_sub_f32_e32 v70, v17, v20
	v_sub_f32_e32 v62, v16, v17
	s_waitcnt lgkmcnt(0)
	v_mul_f32_e32 v54, v29, v7
	v_mul_f32_e32 v55, v28, v7
	s_delay_alu instid0(VALU_DEP_2) | instskip(NEXT) | instid1(VALU_DEP_2)
	v_fma_f32 v24, v28, v6, -v54
	v_fmac_f32_e32 v55, v29, v6
	v_sub_f32_e32 v61, v51, v53
	v_sub_f32_e32 v65, v17, v16
	s_delay_alu instid0(VALU_DEP_4) | instskip(NEXT) | instid1(VALU_DEP_4)
	v_sub_f32_e32 v66, v20, v24
	v_add_f32_e32 v76, v44, v55
	v_sub_f32_e32 v60, v44, v55
	v_dual_add_f32 v64, v16, v24 :: v_dual_sub_f32 v77, v53, v55
	s_waitcnt vmcnt(1)
	v_mul_f32_e32 v28, v23, v11
	v_mul_u32_u24_e32 v39, 0x41, v37
	ds_load_2addr_b64 v[34:37], v85 offset1:195
	v_mul_f32_e32 v21, v19, v9
	s_waitcnt vmcnt(0)
	v_mul_f32_e32 v52, v31, v3
	v_dual_mul_f32 v43, v27, v1 :: v_dual_mul_f32 v54, v30, v3
	v_mul_f32_e32 v45, v26, v1
	v_fma_f32 v78, v18, v8, -v21
	s_delay_alu instid0(VALU_DEP_4)
	v_fma_f32 v52, v30, v2, -v52
	v_mul_f32_e32 v25, v18, v9
	v_mul_f32_e32 v29, v22, v11
	v_dual_sub_f32 v63, v24, v20 :: v_dual_fmac_f32 v54, v31, v2
	v_fma_f32 v28, v22, v10, -v28
	v_fma_f32 v43, v26, v0, -v43
	v_add_lshl_u32 v88, v39, v38, 3
	s_delay_alu instid0(VALU_DEP_4)
	v_add_f32_e32 v30, v62, v63
	v_mad_u64_u32 v[38:39], null, 0x48, v50, s[2:3]
	s_waitcnt lgkmcnt(0)
	s_barrier
	v_add_f32_e32 v56, v34, v16
	v_add_f32_e32 v67, v35, v44
	v_sub_f32_e32 v44, v51, v44
	v_fma_f32 v18, -0.5, v64, v34
	v_fmac_f32_e32 v45, v27, v0
	v_add_f32_e32 v21, v56, v17
	v_fma_f32 v17, -0.5, v68, v35
	v_dual_sub_f32 v68, v78, v52 :: v_dual_sub_f32 v75, v55, v53
	v_fmamk_f32 v22, v61, 0xbf737871, v18
	s_delay_alu instid0(VALU_DEP_4)
	v_add_f32_e32 v26, v21, v20
	v_sub_f32_e32 v69, v16, v24
	v_fma_f32 v16, -0.5, v57, v34
	v_add_f32_e32 v34, v71, v75
	v_fmac_f32_e32 v25, v19, v8
	v_fmac_f32_e32 v29, v23, v10
	v_add_f32_e32 v23, v67, v51
	v_fma_f32 v19, -0.5, v76, v35
	v_dual_add_f32 v35, v44, v77 :: v_dual_add_f32 v24, v26, v24
	v_fmamk_f32 v20, v60, 0x3f737871, v16
	v_dual_fmac_f32 v16, 0xbf737871, v60 :: v_dual_fmamk_f32 v21, v69, 0xbf737871, v17
	v_sub_f32_e32 v64, v28, v78
	v_dual_add_f32 v44, v36, v78 :: v_dual_fmac_f32 v17, 0x3f737871, v69
	v_dual_add_f32 v51, v28, v43 :: v_dual_sub_f32 v76, v54, v45
	s_delay_alu instid0(VALU_DEP_4)
	v_dual_add_f32 v63, v78, v52 :: v_dual_fmac_f32 v16, 0xbf167918, v61
	v_dual_add_f32 v31, v65, v66 :: v_dual_fmac_f32 v18, 0x3f737871, v61
	v_dual_add_f32 v27, v23, v53 :: v_dual_sub_f32 v62, v52, v43
	v_dual_fmamk_f32 v23, v70, 0x3f737871, v19 :: v_dual_sub_f32 v56, v29, v45
	v_dual_fmac_f32 v19, 0xbf737871, v70 :: v_dual_add_f32 v66, v37, v25
	v_dual_sub_f32 v53, v25, v54 :: v_dual_fmac_f32 v20, 0x3f167918, v61
	v_dual_sub_f32 v57, v78, v28 :: v_dual_sub_f32 v78, v29, v25
	v_sub_f32_e32 v65, v43, v52
	v_dual_add_f32 v67, v29, v45 :: v_dual_fmac_f32 v22, 0x3f167918, v60
	v_dual_sub_f32 v71, v28, v43 :: v_dual_fmac_f32 v18, 0xbf167918, v60
	v_dual_sub_f32 v75, v25, v29 :: v_dual_fmac_f32 v20, 0x3e9e377a, v30
	v_dual_add_f32 v28, v44, v28 :: v_dual_fmac_f32 v21, 0xbf167918, v70
	v_fmac_f32_e32 v17, 0x3f167918, v70
	v_fma_f32 v26, -0.5, v51, v36
	v_fma_f32 v36, -0.5, v63, v36
	v_dual_add_f32 v77, v25, v54 :: v_dual_fmac_f32 v22, 0x3e9e377a, v31
	v_dual_sub_f32 v79, v45, v54 :: v_dual_fmac_f32 v18, 0x3e9e377a, v31
	v_dual_add_f32 v25, v27, v55 :: v_dual_fmac_f32 v16, 0x3e9e377a, v30
	v_dual_add_f32 v44, v57, v62 :: v_dual_add_f32 v51, v64, v65
	v_dual_add_f32 v29, v66, v29 :: v_dual_fmamk_f32 v30, v56, 0xbf737871, v36
	v_fma_f32 v27, -0.5, v67, v37
	v_add_f32_e32 v55, v75, v76
	v_fmac_f32_e32 v21, 0x3e9e377a, v34
	v_dual_fmac_f32 v17, 0x3e9e377a, v34 :: v_dual_add_f32 v34, v28, v43
	v_fmamk_f32 v28, v53, 0x3f737871, v26
	v_fmac_f32_e32 v19, 0x3f167918, v69
	v_fmac_f32_e32 v26, 0xbf737871, v53
	;; [unrolled: 1-line block ×3, first 2 shown]
	v_dual_fmac_f32 v37, -0.5, v77 :: v_dual_fmac_f32 v36, 0x3f737871, v56
	v_dual_add_f32 v57, v78, v79 :: v_dual_fmac_f32 v30, 0x3f167918, v53
	v_fmac_f32_e32 v28, 0x3f167918, v56
	v_fmac_f32_e32 v19, 0x3e9e377a, v35
	;; [unrolled: 1-line block ×4, first 2 shown]
	v_dual_add_f32 v35, v29, v45 :: v_dual_fmac_f32 v30, 0x3e9e377a, v51
	v_fmamk_f32 v29, v68, 0xbf737871, v27
	v_fmamk_f32 v31, v71, 0x3f737871, v37
	v_fmac_f32_e32 v37, 0xbf737871, v71
	v_fmac_f32_e32 v27, 0x3f737871, v68
	v_dual_fmac_f32 v36, 0xbf167918, v53 :: v_dual_add_f32 v35, v35, v54
	v_fmac_f32_e32 v29, 0xbf167918, v71
	v_fmac_f32_e32 v31, 0xbf167918, v68
	;; [unrolled: 1-line block ×3, first 2 shown]
	v_dual_fmac_f32 v27, 0x3f167918, v71 :: v_dual_add_f32 v34, v34, v52
	s_delay_alu instid0(VALU_DEP_4) | instskip(NEXT) | instid1(VALU_DEP_4)
	v_dual_fmac_f32 v28, 0x3e9e377a, v44 :: v_dual_fmac_f32 v29, 0x3e9e377a, v55
	v_dual_fmac_f32 v36, 0x3e9e377a, v51 :: v_dual_fmac_f32 v31, 0x3e9e377a, v57
	s_delay_alu instid0(VALU_DEP_4) | instskip(NEXT) | instid1(VALU_DEP_4)
	v_dual_fmac_f32 v37, 0x3e9e377a, v57 :: v_dual_fmac_f32 v26, 0x3e9e377a, v44
	v_fmac_f32_e32 v27, 0x3e9e377a, v55
	buffer_gl0_inv
	ds_store_2addr_b64 v88, v[24:25], v[20:21] offset1:13
	ds_store_2addr_b64 v88, v[22:23], v[18:19] offset0:26 offset1:39
	ds_store_b64 v88, v[16:17] offset:416
	ds_store_2addr_b64 v87, v[34:35], v[28:29] offset1:13
	ds_store_2addr_b64 v87, v[30:31], v[36:37] offset0:26 offset1:39
	ds_store_b64 v87, v[26:27] offset:416
	s_waitcnt lgkmcnt(0)
	s_barrier
	buffer_gl0_inv
	s_clause 0x4
	global_load_b128 v[28:31], v[38:39], off offset:416
	global_load_b128 v[24:27], v[38:39], off offset:432
	;; [unrolled: 1-line block ×4, first 2 shown]
	global_load_b64 v[75:76], v[38:39], off offset:480
	v_and_b32_e32 v43, 0xffff, v41
	ds_load_2addr_b64 v[34:37], v85 offset1:195
	ds_load_2addr_b64 v[38:41], v40 offset0:6 offset1:201
	ds_load_2addr_b64 v[54:57], v47 offset0:24 offset1:219
	v_add_nc_u32_e32 v78, 0x2800, v85
	v_mul_u32_u24_e32 v51, 0x28a, v43
	ds_load_2addr_b64 v[42:45], v42 offset0:12 offset1:207
	v_add_lshl_u32 v89, v51, v50, 3
	ds_load_2addr_b64 v[50:53], v46 offset0:18 offset1:213
	s_waitcnt vmcnt(0) lgkmcnt(0)
	s_barrier
	buffer_gl0_inv
	v_dual_mul_f32 v63, v38, v31 :: v_dual_add_nc_u32 v60, 0x800, v89
	v_dual_mul_f32 v67, v42, v27 :: v_dual_mul_f32 v68, v45, v21
	v_dual_mul_f32 v71, v50, v23 :: v_dual_mul_f32 v90, v57, v76
	v_mul_f32_e32 v46, v37, v29
	v_mul_f32_e32 v62, v39, v31
	;; [unrolled: 1-line block ×5, first 2 shown]
	v_dual_mul_f32 v82, v54, v19 :: v_dual_fmac_f32 v63, v39, v30
	v_fma_f32 v39, v44, v20, -v68
	v_fmac_f32_e32 v67, v43, v26
	v_fma_f32 v43, v56, v75, -v90
	v_fmac_f32_e32 v71, v51, v22
	v_mul_f32_e32 v47, v36, v29
	v_fma_f32 v46, v36, v28, -v46
	v_fma_f32 v36, v38, v30, -v62
	;; [unrolled: 1-line block ×3, first 2 shown]
	v_dual_add_f32 v62, v67, v71 :: v_dual_mul_f32 v65, v40, v25
	v_fmac_f32_e32 v47, v37, v28
	v_fma_f32 v37, v40, v24, -v64
	v_fma_f32 v40, v50, v22, -v70
	v_dual_fmac_f32 v82, v55, v18 :: v_dual_mul_f32 v91, v56, v76
	v_mul_f32_e32 v80, v52, v17
	s_delay_alu instid0(VALU_DEP_4) | instskip(NEXT) | instid1(VALU_DEP_4)
	v_sub_f32_e32 v94, v37, v39
	v_sub_f32_e32 v64, v38, v40
	s_delay_alu instid0(VALU_DEP_4) | instskip(SKIP_4) | instid1(VALU_DEP_4)
	v_dual_add_f32 v70, v63, v82 :: v_dual_fmac_f32 v65, v41, v24
	v_fmac_f32_e32 v91, v57, v75
	v_add_f32_e32 v96, v37, v43
	v_dual_mul_f32 v79, v53, v17 :: v_dual_sub_f32 v68, v82, v71
	v_fmac_f32_e32 v80, v53, v16
	v_dual_sub_f32 v92, v65, v91 :: v_dual_mul_f32 v69, v44, v21
	v_sub_f32_e32 v66, v63, v67
	s_delay_alu instid0(VALU_DEP_4)
	v_fma_f32 v41, v52, v16, -v79
	v_sub_f32_e32 v52, v36, v38
	v_add_f32_e32 v44, v34, v36
	v_fmac_f32_e32 v69, v45, v20
	v_mul_f32_e32 v81, v55, v19
	v_dual_add_f32 v45, v38, v40 :: v_dual_sub_f32 v98, v41, v43
	v_sub_f32_e32 v50, v63, v82
	s_delay_alu instid0(VALU_DEP_4) | instskip(NEXT) | instid1(VALU_DEP_4)
	v_add_f32_e32 v100, v69, v80
	v_fma_f32 v42, v54, v18, -v81
	v_add_nc_u32_e32 v77, 0x1400, v85
	v_add_nc_u32_e32 v61, 0x1000, v89
	v_sub_f32_e32 v97, v39, v37
	s_delay_alu instid0(VALU_DEP_4)
	v_dual_sub_f32 v55, v38, v36 :: v_dual_add_f32 v54, v36, v42
	v_sub_f32_e32 v56, v40, v42
	v_dual_add_f32 v38, v44, v38 :: v_dual_sub_f32 v53, v42, v40
	v_fma_f32 v106, -0.5, v45, v34
	v_dual_add_f32 v57, v35, v63 :: v_dual_sub_f32 v36, v36, v42
	v_add_f32_e32 v81, v46, v37
	v_add_f32_e32 v90, v39, v41
	v_dual_add_f32 v44, v52, v53 :: v_dual_sub_f32 v51, v67, v71
	v_sub_f32_e32 v102, v65, v69
	v_sub_f32_e32 v93, v69, v80
	v_fma_f32 v53, -0.5, v54, v34
	v_add_f32_e32 v34, v55, v56
	v_fma_f32 v56, -0.5, v62, v35
	v_add_f32_e32 v52, v66, v68
	v_dual_fmamk_f32 v68, v50, 0x3f737871, v106 :: v_dual_sub_f32 v63, v67, v63
	v_dual_sub_f32 v79, v71, v82 :: v_dual_add_f32 v38, v38, v40
	v_add_f32_e32 v99, v47, v65
	v_dual_sub_f32 v101, v39, v41 :: v_dual_add_f32 v104, v65, v91
	s_delay_alu instid0(VALU_DEP_4)
	v_dual_sub_f32 v65, v69, v65 :: v_dual_fmac_f32 v68, 0x3f167918, v51
	v_add_f32_e32 v45, v57, v67
	v_fma_f32 v55, -0.5, v70, v35
	v_fma_f32 v54, -0.5, v90, v46
	v_fmac_f32_e32 v46, -0.5, v96
	v_fmac_f32_e32 v106, 0xbf737871, v50
	v_dual_fmamk_f32 v70, v36, 0xbf737871, v56 :: v_dual_add_f32 v39, v81, v39
	v_dual_sub_f32 v95, v43, v41 :: v_dual_add_f32 v40, v45, v71
	v_fmac_f32_e32 v68, 0x3e9e377a, v44
	v_fmamk_f32 v45, v93, 0xbf737871, v46
	s_delay_alu instid0(VALU_DEP_4) | instskip(SKIP_1) | instid1(VALU_DEP_3)
	v_dual_fmac_f32 v70, 0xbf167918, v64 :: v_dual_add_f32 v39, v39, v41
	v_dual_add_f32 v62, v97, v98 :: v_dual_fmamk_f32 v71, v64, 0x3f737871, v55
	v_fmac_f32_e32 v45, 0x3f167918, v92
	v_fma_f32 v66, -0.5, v100, v47
	v_fmac_f32_e32 v47, -0.5, v104
	v_fmac_f32_e32 v56, 0x3f737871, v36
	v_add_f32_e32 v38, v38, v42
	v_fmac_f32_e32 v45, 0x3e9e377a, v62
	v_fmac_f32_e32 v55, 0xbf737871, v64
	;; [unrolled: 1-line block ×3, first 2 shown]
	v_sub_f32_e32 v37, v37, v43
	v_dual_add_f32 v57, v94, v95 :: v_dual_fmac_f32 v56, 0x3f167918, v64
	s_delay_alu instid0(VALU_DEP_4)
	v_dual_fmac_f32 v55, 0x3f167918, v36 :: v_dual_add_f32 v36, v39, v43
	v_add_f32_e32 v35, v63, v79
	v_dual_add_f32 v63, v99, v69 :: v_dual_fmac_f32 v106, 0xbf167918, v51
	v_fmamk_f32 v69, v51, 0xbf737871, v53
	v_fmac_f32_e32 v53, 0x3f737871, v51
	v_dual_sub_f32 v103, v91, v80 :: v_dual_fmac_f32 v46, 0x3f737871, v93
	v_fmac_f32_e32 v56, 0x3e9e377a, v52
	v_fmac_f32_e32 v106, 0x3e9e377a, v44
	s_delay_alu instid0(VALU_DEP_4) | instskip(SKIP_2) | instid1(VALU_DEP_3)
	v_fmac_f32_e32 v53, 0xbf167918, v50
	v_add_f32_e32 v40, v40, v82
	v_fmac_f32_e32 v46, 0xbf167918, v92
	v_dual_fmac_f32 v70, 0x3e9e377a, v52 :: v_dual_fmac_f32 v53, 0x3e9e377a, v34
	v_fmamk_f32 v41, v92, 0x3f737871, v54
	v_dual_fmac_f32 v54, 0xbf737871, v92 :: v_dual_sub_f32 v105, v80, v91
	v_add_f32_e32 v67, v102, v103
	v_fmamk_f32 v79, v37, 0xbf737871, v66
	v_dual_fmac_f32 v66, 0x3f737871, v37 :: v_dual_add_f32 v63, v63, v80
	s_delay_alu instid0(VALU_DEP_4) | instskip(SKIP_2) | instid1(VALU_DEP_4)
	v_fmac_f32_e32 v54, 0xbf167918, v93
	v_fmamk_f32 v80, v101, 0x3f737871, v47
	v_fmac_f32_e32 v47, 0xbf737871, v101
	v_dual_fmac_f32 v66, 0x3f167918, v101 :: v_dual_add_f32 v39, v63, v91
	s_delay_alu instid0(VALU_DEP_4)
	v_dual_fmac_f32 v71, 0x3e9e377a, v35 :: v_dual_fmac_f32 v54, 0x3e9e377a, v57
	v_add_f32_e32 v65, v65, v105
	v_fmac_f32_e32 v80, 0xbf167918, v37
	v_fmac_f32_e32 v47, 0x3f167918, v37
	v_dual_fmac_f32 v55, 0x3e9e377a, v35 :: v_dual_fmac_f32 v46, 0x3e9e377a, v62
	v_fmac_f32_e32 v66, 0x3e9e377a, v67
	v_add_f32_e32 v35, v40, v39
	v_sub_f32_e32 v37, v40, v39
	v_mul_f32_e32 v39, 0x3f4f1bbd, v54
	v_fmac_f32_e32 v80, 0x3e9e377a, v65
	v_fmac_f32_e32 v47, 0x3e9e377a, v65
	v_mul_f32_e32 v42, 0x3f4f1bbd, v66
	v_mul_f32_e32 v62, 0xbf737871, v45
	v_fma_f32 v63, 0x3f167918, v66, -v39
	v_mul_f32_e32 v51, 0x3f737871, v80
	s_delay_alu instid0(VALU_DEP_4) | instskip(NEXT) | instid1(VALU_DEP_4)
	v_fma_f32 v65, 0xbf167918, v54, -v42
	v_fmac_f32_e32 v62, 0x3e9e377a, v80
	s_delay_alu instid0(VALU_DEP_4) | instskip(NEXT) | instid1(VALU_DEP_4)
	v_dual_add_f32 v44, v106, v63 :: v_dual_fmac_f32 v79, 0xbf167918, v101
	v_fmac_f32_e32 v51, 0x3e9e377a, v45
	s_delay_alu instid0(VALU_DEP_4) | instskip(NEXT) | instid1(VALU_DEP_3)
	v_add_f32_e32 v45, v56, v65
	v_fmac_f32_e32 v79, 0x3e9e377a, v67
	s_delay_alu instid0(VALU_DEP_1) | instskip(NEXT) | instid1(VALU_DEP_1)
	v_dual_fmac_f32 v69, 0x3f167918, v50 :: v_dual_mul_f32 v50, 0x3f167918, v79
	v_dual_fmac_f32 v69, 0x3e9e377a, v34 :: v_dual_add_f32 v34, v38, v36
	v_sub_f32_e32 v36, v38, v36
	v_mul_f32_e32 v38, 0x3e9e377a, v46
	v_mul_f32_e32 v40, 0x3e9e377a, v47
	s_delay_alu instid0(VALU_DEP_4) | instskip(NEXT) | instid1(VALU_DEP_3)
	v_sub_f32_e32 v52, v69, v51
	v_fma_f32 v47, 0x3f737871, v47, -v38
	s_delay_alu instid0(VALU_DEP_3) | instskip(SKIP_1) | instid1(VALU_DEP_3)
	v_fma_f32 v64, 0xbf737871, v46, -v40
	v_dual_add_f32 v40, v69, v51 :: v_dual_sub_f32 v51, v56, v65
	v_dual_add_f32 v42, v53, v47 :: v_dual_fmac_f32 v41, 0x3f167918, v93
	s_delay_alu instid0(VALU_DEP_3) | instskip(SKIP_2) | instid1(VALU_DEP_4)
	v_dual_add_f32 v43, v55, v64 :: v_dual_sub_f32 v54, v53, v47
	v_sub_f32_e32 v53, v71, v62
	v_sub_f32_e32 v55, v55, v64
	v_fmac_f32_e32 v41, 0x3e9e377a, v57
	s_delay_alu instid0(VALU_DEP_1) | instskip(SKIP_1) | instid1(VALU_DEP_1)
	v_mul_f32_e32 v57, 0xbf167918, v41
	v_dual_fmac_f32 v50, 0x3f4f1bbd, v41 :: v_dual_add_f32 v41, v71, v62
	v_dual_fmac_f32 v57, 0x3f4f1bbd, v79 :: v_dual_add_f32 v38, v68, v50
	v_sub_f32_e32 v46, v68, v50
	v_sub_f32_e32 v50, v106, v63
	s_delay_alu instid0(VALU_DEP_3)
	v_add_f32_e32 v39, v70, v57
	v_sub_f32_e32 v47, v70, v57
	ds_store_2addr_b64 v89, v[34:35], v[38:39] offset1:65
	ds_store_2addr_b64 v89, v[40:41], v[42:43] offset0:130 offset1:195
	ds_store_2addr_b64 v60, v[44:45], v[36:37] offset0:4 offset1:69
	;; [unrolled: 1-line block ×4, first 2 shown]
	s_waitcnt lgkmcnt(0)
	s_barrier
	buffer_gl0_inv
	ds_load_2addr_b64 v[60:63], v85 offset1:195
	ds_load_2addr_b64 v[64:67], v77 offset0:10 offset1:205
	ds_load_2addr_b64 v[54:57], v78 offset0:20 offset1:215
	ds_load_b64 v[52:53], v85 offset:3120
	ds_load_b64 v[70:71], v85 offset:8320
	;; [unrolled: 1-line block ×3, first 2 shown]
	s_and_saveexec_b32 s1, s0
	s_cbranch_execz .LBB0_9
; %bb.8:
	ds_load_b64 v[50:51], v85 offset:4680
	ds_load_b64 v[58:59], v85 offset:9880
	;; [unrolled: 1-line block ×3, first 2 shown]
.LBB0_9:
	s_or_b32 exec_lo, exec_lo, s1
	v_lshlrev_b32_e32 v36, 4, v84
	v_lshlrev_b64 v[32:33], 4, v[32:33]
	s_delay_alu instid0(VALU_DEP_2) | instskip(NEXT) | instid1(VALU_DEP_1)
	v_add_co_u32 v34, s1, s2, v36
	v_add_co_ci_u32_e64 v35, null, s3, 0, s1
	s_delay_alu instid0(VALU_DEP_3) | instskip(NEXT) | instid1(VALU_DEP_1)
	v_add_co_u32 v37, s1, s2, v32
	v_add_co_ci_u32_e64 v38, s1, s3, v33, s1
	s_delay_alu instid0(VALU_DEP_4) | instskip(NEXT) | instid1(VALU_DEP_1)
	v_add_co_u32 v32, s1, 0x1000, v34
	v_add_co_ci_u32_e64 v33, s1, 0, v35, s1
	s_delay_alu instid0(VALU_DEP_4) | instskip(NEXT) | instid1(VALU_DEP_1)
	v_add_co_u32 v34, s1, 0x1000, v37
	v_add_co_ci_u32_e64 v35, s1, 0, v38, s1
	v_add_nc_u32_e32 v40, 0x1860, v36
	s_clause 0x1
	global_load_b128 v[44:47], v[32:33], off offset:1000
	global_load_b128 v[36:39], v[34:35], off offset:1000
	v_add_co_u32 v41, s1, 0x249, v84
	s_delay_alu instid0(VALU_DEP_1) | instskip(SKIP_3) | instid1(VALU_DEP_1)
	v_add_co_ci_u32_e64 v42, null, 0, 0, s1
	s_waitcnt vmcnt(1) lgkmcnt(3)
	v_mul_f32_e32 v81, v55, v47
	v_add_co_u32 v32, s1, s2, v40
	v_add_co_ci_u32_e64 v33, null, s3, 0, s1
	v_add_co_u32 v34, s1, 0xffffffbf, v84
	s_delay_alu instid0(VALU_DEP_1) | instskip(NEXT) | instid1(VALU_DEP_4)
	v_add_co_ci_u32_e64 v35, null, 0, -1, s1
	v_add_co_u32 v32, s1, 0x1000, v32
	s_delay_alu instid0(VALU_DEP_1) | instskip(NEXT) | instid1(VALU_DEP_3)
	v_add_co_ci_u32_e64 v33, s1, 0, v33, s1
	v_cndmask_b32_e64 v35, v35, v42, s0
	v_cndmask_b32_e64 v34, v34, v41, s0
	v_mul_f32_e32 v79, v65, v45
	global_load_b128 v[40:43], v[32:33], off offset:1000
	v_mul_f32_e32 v80, v64, v45
	v_mul_f32_e32 v82, v54, v47
	v_lshlrev_b64 v[32:33], 4, v[34:35]
	s_waitcnt vmcnt(1)
	v_dual_mul_f32 v90, v67, v37 :: v_dual_mul_f32 v93, v56, v39
	v_dual_mul_f32 v91, v66, v37 :: v_dual_mul_f32 v92, v57, v39
	v_fma_f32 v64, v64, v44, -v79
	s_delay_alu instid0(VALU_DEP_4) | instskip(NEXT) | instid1(VALU_DEP_1)
	v_add_co_u32 v32, s1, s2, v32
	v_add_co_ci_u32_e64 v33, s1, s3, v33, s1
	v_fmac_f32_e32 v80, v65, v44
	s_delay_alu instid0(VALU_DEP_3) | instskip(NEXT) | instid1(VALU_DEP_1)
	v_add_co_u32 v32, s1, 0x1000, v32
	v_add_co_ci_u32_e64 v33, s1, 0, v33, s1
	v_fma_f32 v54, v54, v46, -v81
	v_fmac_f32_e32 v82, v55, v46
	v_fmac_f32_e32 v93, v57, v38
	global_load_b128 v[32:35], v[32:33], off offset:1000
	v_fma_f32 v66, v66, v36, -v90
	v_add_f32_e32 v57, v64, v54
	s_waitcnt vmcnt(1) lgkmcnt(1)
	v_mul_f32_e32 v55, v71, v41
	v_mul_f32_e32 v79, v70, v41
	s_waitcnt lgkmcnt(0)
	v_mul_f32_e32 v65, v69, v43
	v_mul_f32_e32 v81, v68, v43
	v_fmac_f32_e32 v91, v67, v36
	v_fma_f32 v67, v56, v38, -v92
	v_fma_f32 v55, v70, v40, -v55
	v_dual_add_f32 v70, v80, v82 :: v_dual_fmac_f32 v79, v71, v40
	v_fma_f32 v68, v68, v42, -v65
	v_dual_fmac_f32 v81, v69, v42 :: v_dual_add_f32 v56, v60, v64
	v_dual_sub_f32 v69, v80, v82 :: v_dual_add_f32 v96, v66, v67
	v_add_f32_e32 v65, v61, v80
	v_dual_sub_f32 v71, v64, v54 :: v_dual_add_f32 v98, v63, v91
	s_delay_alu instid0(VALU_DEP_4)
	v_dual_sub_f32 v97, v91, v93 :: v_dual_add_f32 v56, v56, v54
	v_dual_add_f32 v95, v62, v66 :: v_dual_add_f32 v54, v52, v55
	s_waitcnt vmcnt(0)
	v_mul_f32_e32 v80, v59, v33
	v_mul_f32_e32 v90, v58, v33
	;; [unrolled: 1-line block ×3, first 2 shown]
	v_dual_mul_f32 v94, v48, v35 :: v_dual_add_f32 v91, v91, v93
	v_sub_f32_e32 v99, v66, v67
	v_fma_f32 v64, -0.5, v57, v60
	v_dual_add_f32 v60, v55, v68 :: v_dual_add_f32 v57, v65, v82
	v_sub_f32_e32 v82, v79, v81
	v_fma_f32 v65, -0.5, v70, v61
	v_dual_add_f32 v61, v53, v79 :: v_dual_add_f32 v70, v79, v81
	v_fma_f32 v79, v58, v32, -v80
	v_fmac_f32_e32 v90, v59, v32
	v_fma_f32 v48, v48, v34, -v92
	v_dual_fmac_f32 v94, v49, v34 :: v_dual_fmac_f32 v63, -0.5, v91
	v_dual_sub_f32 v55, v55, v68 :: v_dual_fmamk_f32 v58, v69, 0x3f5db3d7, v64
	v_add_f32_e32 v66, v95, v67
	v_fma_f32 v62, -0.5, v96, v62
	v_add_f32_e32 v67, v98, v93
	v_fmac_f32_e32 v64, 0xbf5db3d7, v69
	v_add_f32_e32 v69, v61, v81
	v_dual_fmamk_f32 v59, v71, 0xbf5db3d7, v65 :: v_dual_add_f32 v68, v54, v68
	v_fma_f32 v52, -0.5, v60, v52
	v_fmac_f32_e32 v53, -0.5, v70
	v_dual_fmamk_f32 v61, v99, 0xbf5db3d7, v63 :: v_dual_sub_f32 v80, v90, v94
	v_dual_fmac_f32 v63, 0x3f5db3d7, v99 :: v_dual_add_f32 v54, v79, v48
	s_delay_alu instid0(VALU_DEP_4)
	v_dual_add_f32 v81, v51, v90 :: v_dual_fmamk_f32 v70, v82, 0x3f5db3d7, v52
	v_dual_add_f32 v90, v90, v94 :: v_dual_fmac_f32 v65, 0x3f5db3d7, v71
	v_fmamk_f32 v60, v97, 0x3f5db3d7, v62
	v_dual_fmac_f32 v62, 0xbf5db3d7, v97 :: v_dual_add_f32 v49, v50, v79
	v_dual_fmac_f32 v52, 0xbf5db3d7, v82 :: v_dual_sub_f32 v79, v79, v48
	v_dual_fmamk_f32 v71, v55, 0xbf5db3d7, v53 :: v_dual_fmac_f32 v50, -0.5, v54
	v_fmac_f32_e32 v51, -0.5, v90
	s_delay_alu instid0(VALU_DEP_4) | instskip(NEXT) | instid1(VALU_DEP_3)
	v_dual_fmac_f32 v53, 0x3f5db3d7, v55 :: v_dual_add_f32 v54, v49, v48
	v_dual_add_f32 v55, v81, v94 :: v_dual_fmamk_f32 v48, v80, 0x3f5db3d7, v50
	s_delay_alu instid0(VALU_DEP_3)
	v_dual_fmac_f32 v50, 0xbf5db3d7, v80 :: v_dual_fmamk_f32 v49, v79, 0xbf5db3d7, v51
	v_fmac_f32_e32 v51, 0x3f5db3d7, v79
	ds_store_2addr_b64 v85, v[56:57], v[66:67] offset1:195
	ds_store_2addr_b64 v77, v[58:59], v[60:61] offset0:10 offset1:205
	ds_store_2addr_b64 v78, v[64:65], v[62:63] offset0:20 offset1:215
	ds_store_b64 v85, v[68:69] offset:3120
	ds_store_b64 v85, v[70:71] offset:8320
	;; [unrolled: 1-line block ×3, first 2 shown]
	s_and_saveexec_b32 s1, s0
	s_cbranch_execz .LBB0_11
; %bb.10:
	ds_store_b64 v85, v[54:55] offset:4680
	ds_store_b64 v85, v[48:49] offset:9880
	;; [unrolled: 1-line block ×3, first 2 shown]
.LBB0_11:
	s_or_b32 exec_lo, exec_lo, s1
	s_waitcnt lgkmcnt(0)
	s_barrier
	buffer_gl0_inv
	s_and_saveexec_b32 s2, vcc_lo
	s_cbranch_execz .LBB0_13
; %bb.12:
	v_add_co_u32 v92, s1, s14, v83
	s_delay_alu instid0(VALU_DEP_1) | instskip(SKIP_1) | instid1(VALU_DEP_3)
	v_add_co_ci_u32_e64 v93, null, s15, 0, s1
	v_add_nc_u32_e32 v133, 0x400, v83
	v_add_co_u32 v77, s1, 0x3000, v92
	s_delay_alu instid0(VALU_DEP_1) | instskip(SKIP_1) | instid1(VALU_DEP_1)
	v_add_co_ci_u32_e64 v78, s1, 0, v93, s1
	v_add_co_u32 v79, s1, 0x3cf0, v92
	v_add_co_ci_u32_e64 v80, s1, 0, v93, s1
	global_load_b64 v[77:78], v[77:78], off offset:3312
	v_add_co_u32 v81, s1, 0x4000, v92
	s_clause 0x2
	global_load_b64 v[110:111], v[79:80], off offset:1200
	global_load_b64 v[112:113], v[79:80], off offset:2400
	;; [unrolled: 1-line block ×3, first 2 shown]
	v_add_co_ci_u32_e64 v82, s1, 0, v93, s1
	v_add_co_u32 v90, s1, 0x5000, v92
	s_delay_alu instid0(VALU_DEP_1) | instskip(SKIP_1) | instid1(VALU_DEP_1)
	v_add_co_ci_u32_e64 v91, s1, 0, v93, s1
	v_add_co_u32 v79, s1, 0x6000, v92
	v_add_co_ci_u32_e64 v80, s1, 0, v93, s1
	s_clause 0x4
	global_load_b64 v[81:82], v[81:82], off offset:4016
	global_load_b64 v[116:117], v[90:91], off offset:1120
	;; [unrolled: 1-line block ×5, first 2 shown]
	v_add_co_u32 v90, s1, 0x7000, v92
	s_delay_alu instid0(VALU_DEP_1)
	v_add_co_ci_u32_e64 v91, s1, 0, v93, s1
	s_clause 0x3
	global_load_b64 v[124:125], v[79:80], off offset:1824
	global_load_b64 v[126:127], v[79:80], off offset:3024
	;; [unrolled: 1-line block ×4, first 2 shown]
	ds_load_b64 v[79:80], v85
	v_add_nc_u32_e32 v134, 0xc00, v83
	v_add_nc_u32_e32 v136, 0x2000, v83
	s_waitcnt vmcnt(12) lgkmcnt(0)
	v_mul_f32_e32 v90, v80, v78
	v_mul_f32_e32 v91, v79, v78
	s_delay_alu instid0(VALU_DEP_2) | instskip(NEXT) | instid1(VALU_DEP_2)
	v_fma_f32 v90, v79, v77, -v90
	v_fmac_f32_e32 v91, v80, v77
	ds_store_b64 v85, v[90:91]
	ds_load_2addr_b64 v[77:80], v133 offset0:22 offset1:172
	ds_load_2addr_b64 v[90:93], v134 offset0:66 offset1:216
	v_add_nc_u32_e32 v135, 0x1600, v83
	v_add_nc_u32_e32 v137, 0x2800, v83
	;; [unrolled: 1-line block ×3, first 2 shown]
	ds_load_2addr_b64 v[98:101], v136 offset0:26 offset1:176
	s_waitcnt vmcnt(10) lgkmcnt(2)
	v_mul_f32_e32 v140, v80, v113
	ds_load_2addr_b64 v[94:97], v135 offset0:46 offset1:196
	v_mul_f32_e32 v139, v78, v111
	v_dual_mul_f32 v132, v77, v111 :: v_dual_mul_f32 v111, v79, v113
	s_waitcnt vmcnt(8) lgkmcnt(2)
	v_mul_f32_e32 v142, v93, v82
	ds_load_2addr_b64 v[102:105], v137 offset0:70 offset1:220
	ds_load_2addr_b64 v[106:109], v138 offset0:50 offset1:200
	v_mul_f32_e32 v141, v91, v115
	v_mul_f32_e32 v113, v90, v115
	;; [unrolled: 1-line block ×3, first 2 shown]
	s_waitcnt vmcnt(4) lgkmcnt(3)
	v_dual_mul_f32 v145, v99, v121 :: v_dual_mul_f32 v146, v101, v123
	v_fmac_f32_e32 v111, v80, v112
	v_fmac_f32_e32 v113, v91, v114
	v_dual_fmac_f32 v115, v93, v81 :: v_dual_fmac_f32 v132, v78, v110
	s_waitcnt lgkmcnt(2)
	v_mul_f32_e32 v82, v94, v117
	v_dual_mul_f32 v143, v95, v117 :: v_dual_mul_f32 v144, v97, v119
	v_mul_f32_e32 v117, v96, v119
	s_waitcnt vmcnt(2) lgkmcnt(1)
	v_dual_mul_f32 v119, v98, v121 :: v_dual_mul_f32 v148, v105, v127
	v_mul_f32_e32 v121, v100, v123
	s_waitcnt vmcnt(0) lgkmcnt(0)
	v_dual_mul_f32 v147, v103, v125 :: v_dual_mul_f32 v150, v109, v131
	v_mul_f32_e32 v123, v102, v125
	v_mul_f32_e32 v125, v104, v127
	;; [unrolled: 1-line block ×4, first 2 shown]
	v_dual_mul_f32 v129, v108, v131 :: v_dual_fmac_f32 v82, v95, v116
	v_fma_f32 v131, v77, v110, -v139
	v_fma_f32 v110, v79, v112, -v140
	;; [unrolled: 1-line block ×6, first 2 shown]
	v_fmac_f32_e32 v117, v97, v118
	v_fma_f32 v118, v98, v120, -v145
	v_fmac_f32_e32 v119, v99, v120
	v_fma_f32 v120, v100, v122, -v146
	;; [unrolled: 2-line block ×6, first 2 shown]
	v_fmac_f32_e32 v129, v109, v130
	ds_store_2addr_b64 v133, v[131:132], v[110:111] offset0:22 offset1:172
	ds_store_2addr_b64 v134, v[112:113], v[114:115] offset0:66 offset1:216
	ds_store_2addr_b64 v135, v[81:82], v[116:117] offset0:46 offset1:196
	ds_store_2addr_b64 v136, v[118:119], v[120:121] offset0:26 offset1:176
	ds_store_2addr_b64 v137, v[122:123], v[124:125] offset0:70 offset1:220
	ds_store_2addr_b64 v138, v[126:127], v[128:129] offset0:50 offset1:200
.LBB0_13:
	s_or_b32 exec_lo, exec_lo, s2
	s_waitcnt lgkmcnt(0)
	s_barrier
	buffer_gl0_inv
	s_and_saveexec_b32 s1, vcc_lo
	s_cbranch_execz .LBB0_15
; %bb.14:
	v_add_nc_u32_e32 v48, 0x800, v85
	v_add_nc_u32_e32 v49, 0x1000, v85
	;; [unrolled: 1-line block ×5, first 2 shown]
	ds_load_2addr_b64 v[56:59], v85 offset1:150
	ds_load_2addr_b64 v[64:67], v48 offset0:44 offset1:194
	ds_load_2addr_b64 v[60:63], v49 offset0:88 offset1:238
	;; [unrolled: 1-line block ×5, first 2 shown]
	ds_load_b64 v[73:74], v85 offset:14400
.LBB0_15:
	s_or_b32 exec_lo, exec_lo, s1
	s_waitcnt lgkmcnt(0)
	v_dual_sub_f32 v102, v59, v74 :: v_dual_add_f32 v91, v50, v64
	v_add_f32_e32 v106, v74, v59
	v_dual_add_f32 v90, v73, v58 :: v_dual_add_f32 v107, v51, v65
	s_delay_alu instid0(VALU_DEP_3) | instskip(NEXT) | instid1(VALU_DEP_3)
	v_dual_mul_f32 v109, 0xbf52af12, v102 :: v_dual_sub_f32 v92, v58, v73
	v_mul_f32_e32 v113, 0x3f116cb1, v106
	v_sub_f32_e32 v103, v65, v51
	s_delay_alu instid0(VALU_DEP_4) | instskip(NEXT) | instid1(VALU_DEP_4)
	v_dual_mul_f32 v129, 0xbf788fa5, v107 :: v_dual_add_f32 v94, v48, v66
	v_fma_f32 v77, 0x3f116cb1, v90, -v109
	v_mul_f32_e32 v120, 0xbf7e222b, v102
	v_fmamk_f32 v78, v92, 0xbf52af12, v113
	v_dual_mul_f32 v110, 0xbf6f5d39, v103 :: v_dual_sub_f32 v93, v64, v50
	s_delay_alu instid0(VALU_DEP_4) | instskip(NEXT) | instid1(VALU_DEP_4)
	v_add_f32_e32 v77, v56, v77
	v_fma_f32 v79, 0x3df6dbef, v90, -v120
	v_mul_f32_e32 v124, 0x3df6dbef, v106
	s_delay_alu instid0(VALU_DEP_4) | instskip(SKIP_1) | instid1(VALU_DEP_4)
	v_fma_f32 v81, 0xbeb58ec6, v91, -v110
	v_dual_add_f32 v78, v57, v78 :: v_dual_mul_f32 v117, 0xbeb58ec6, v107
	v_add_f32_e32 v79, v56, v79
	s_delay_alu instid0(VALU_DEP_3) | instskip(NEXT) | instid1(VALU_DEP_3)
	v_dual_fmamk_f32 v80, v92, 0xbf7e222b, v124 :: v_dual_add_f32 v77, v81, v77
	v_dual_sub_f32 v104, v67, v49 :: v_dual_fmamk_f32 v81, v93, 0xbf6f5d39, v117
	s_delay_alu instid0(VALU_DEP_2) | instskip(SKIP_2) | instid1(VALU_DEP_3)
	v_dual_mul_f32 v125, 0xbe750f2a, v103 :: v_dual_add_f32 v80, v57, v80
	v_dual_add_f32 v112, v49, v67 :: v_dual_sub_f32 v95, v66, v48
	v_fmamk_f32 v96, v93, 0xbe750f2a, v129
	v_fma_f32 v82, 0xbf788fa5, v91, -v125
	v_mul_f32_e32 v114, 0xbe750f2a, v104
	s_delay_alu instid0(VALU_DEP_4) | instskip(SKIP_1) | instid1(VALU_DEP_4)
	v_dual_mul_f32 v121, 0xbf788fa5, v112 :: v_dual_add_f32 v78, v81, v78
	v_dual_sub_f32 v105, v61, v55 :: v_dual_add_f32 v116, v55, v61
	v_add_f32_e32 v79, v82, v79
	s_delay_alu instid0(VALU_DEP_4) | instskip(NEXT) | instid1(VALU_DEP_4)
	v_fma_f32 v97, 0xbf788fa5, v94, -v114
	v_fmamk_f32 v81, v95, 0xbe750f2a, v121
	v_mul_f32_e32 v128, 0x3f6f5d39, v104
	v_dual_mul_f32 v118, 0x3f29c268, v105 :: v_dual_add_f32 v119, v53, v63
	s_delay_alu instid0(VALU_DEP_4)
	v_add_f32_e32 v77, v97, v77
	v_sub_f32_e32 v97, v60, v54
	v_add_f32_e32 v80, v96, v80
	v_dual_mul_f32 v123, 0xbf3f9e67, v116 :: v_dual_add_f32 v78, v81, v78
	v_add_f32_e32 v96, v54, v60
	v_fma_f32 v82, 0xbeb58ec6, v94, -v128
	v_mul_f32_e32 v132, 0xbeb58ec6, v112
	s_delay_alu instid0(VALU_DEP_4) | instskip(SKIP_2) | instid1(VALU_DEP_4)
	v_dual_fmamk_f32 v81, v97, 0x3f29c268, v123 :: v_dual_sub_f32 v108, v63, v53
	v_mul_f32_e32 v135, 0x3f62ad3f, v116
	v_fma_f32 v99, 0xbf3f9e67, v96, -v118
	v_dual_add_f32 v79, v82, v79 :: v_dual_fmamk_f32 v98, v95, 0x3f6f5d39, v132
	s_delay_alu instid0(VALU_DEP_4) | instskip(NEXT) | instid1(VALU_DEP_3)
	v_dual_mul_f32 v131, 0x3eedf032, v105 :: v_dual_add_f32 v78, v81, v78
	v_add_f32_e32 v77, v99, v77
	v_sub_f32_e32 v99, v62, v52
	s_delay_alu instid0(VALU_DEP_4) | instskip(NEXT) | instid1(VALU_DEP_4)
	v_add_f32_e32 v80, v98, v80
	v_fma_f32 v81, 0x3f62ad3f, v96, -v131
	v_dual_add_f32 v98, v52, v62 :: v_dual_mul_f32 v133, 0xbf52af12, v108
	v_mul_f32_e32 v122, 0x3f7e222b, v108
	v_dual_fmamk_f32 v82, v97, 0x3eedf032, v135 :: v_dual_add_f32 v115, v71, v69
	s_delay_alu instid0(VALU_DEP_4) | instskip(NEXT) | instid1(VALU_DEP_4)
	v_add_f32_e32 v79, v81, v79
	v_fma_f32 v101, 0x3f116cb1, v98, -v133
	s_delay_alu instid0(VALU_DEP_4) | instskip(SKIP_2) | instid1(VALU_DEP_4)
	v_fma_f32 v100, 0x3df6dbef, v98, -v122
	v_mul_f32_e32 v126, 0x3df6dbef, v119
	v_mul_f32_e32 v136, 0x3f116cb1, v119
	v_dual_add_f32 v80, v82, v80 :: v_dual_add_f32 v79, v101, v79
	s_delay_alu instid0(VALU_DEP_4) | instskip(NEXT) | instid1(VALU_DEP_4)
	v_dual_add_f32 v77, v100, v77 :: v_dual_add_f32 v100, v70, v68
	v_fmamk_f32 v81, v99, 0x3f7e222b, v126
	v_dual_sub_f32 v101, v68, v70 :: v_dual_mul_f32 v130, 0x3f62ad3f, v115
	s_barrier
	s_delay_alu instid0(VALU_DEP_2) | instskip(NEXT) | instid1(VALU_DEP_2)
	v_dual_add_f32 v78, v81, v78 :: v_dual_fmamk_f32 v81, v99, 0xbf52af12, v136
	v_fmamk_f32 v82, v101, 0x3eedf032, v130
	v_sub_f32_e32 v111, v69, v71
	buffer_gl0_inv
	v_add_f32_e32 v80, v81, v80
	v_dual_add_f32 v78, v82, v78 :: v_dual_mul_f32 v127, 0x3eedf032, v111
	v_mul_f32_e32 v137, 0xbf3f9e67, v115
	v_mul_f32_e32 v134, 0xbf29c268, v111
	s_delay_alu instid0(VALU_DEP_3) | instskip(NEXT) | instid1(VALU_DEP_3)
	v_fma_f32 v81, 0x3f62ad3f, v100, -v127
	v_fmamk_f32 v139, v101, 0xbf29c268, v137
	s_delay_alu instid0(VALU_DEP_3) | instskip(NEXT) | instid1(VALU_DEP_2)
	v_fma_f32 v138, 0xbf3f9e67, v100, -v134
	v_dual_add_f32 v77, v81, v77 :: v_dual_add_f32 v80, v139, v80
	s_delay_alu instid0(VALU_DEP_2)
	v_add_f32_e32 v79, v138, v79
	s_and_saveexec_b32 s1, vcc_lo
	s_cbranch_execz .LBB0_17
; %bb.16:
	v_dual_mul_f32 v147, 0xbe750f2a, v93 :: v_dual_mul_f32 v166, 0xbe750f2a, v102
	v_dual_mul_f32 v156, 0x3eedf032, v97 :: v_dual_mul_f32 v169, 0x3eedf032, v103
	v_mul_f32_e32 v190, 0xbf3f9e67, v107
	v_dual_mul_f32 v168, 0xbf29c268, v101 :: v_dual_mul_f32 v171, 0xbf29c268, v104
	s_delay_alu instid0(VALU_DEP_4) | instskip(SKIP_3) | instid1(VALU_DEP_4)
	v_dual_fmamk_f32 v138, v90, 0xbf788fa5, v166 :: v_dual_mul_f32 v197, 0xbf788fa5, v119
	v_mul_f32_e32 v141, 0xbf7e222b, v92
	v_fmamk_f32 v139, v91, 0x3f62ad3f, v169
	v_fmamk_f32 v192, v93, 0xbf29c268, v190
	v_dual_add_f32 v138, v56, v138 :: v_dual_mul_f32 v183, 0x3f7e222b, v103
	v_mul_f32_e32 v145, 0xbf6f5d39, v93
	v_mul_f32_e32 v152, 0xbf3f9e67, v96
	;; [unrolled: 1-line block ×3, first 2 shown]
	s_delay_alu instid0(VALU_DEP_4) | instskip(SKIP_2) | instid1(VALU_DEP_3)
	v_dual_add_f32 v138, v139, v138 :: v_dual_fmamk_f32 v139, v94, 0xbf3f9e67, v171
	v_dual_fmamk_f32 v184, v91, 0x3df6dbef, v183 :: v_dual_mul_f32 v195, 0x3df6dbef, v116
	v_mul_f32_e32 v173, 0x3f52af12, v105
	v_dual_mul_f32 v149, 0xbe750f2a, v95 :: v_dual_add_f32 v138, v139, v138
	v_dual_mul_f32 v159, 0x3f62ad3f, v107 :: v_dual_mul_f32 v162, 0x3f62ad3f, v100
	s_delay_alu instid0(VALU_DEP_3) | instskip(SKIP_2) | instid1(VALU_DEP_4)
	v_fmamk_f32 v139, v96, 0x3f116cb1, v173
	v_fmamk_f32 v81, v92, 0x3e750f2a, v154
	v_dual_mul_f32 v163, 0xbf3f9e67, v112 :: v_dual_mul_f32 v174, 0xbf3f9e67, v106
	v_fmamk_f32 v82, v93, 0xbeedf032, v159
	s_delay_alu instid0(VALU_DEP_4) | instskip(NEXT) | instid1(VALU_DEP_4)
	v_add_f32_e32 v138, v139, v138
	v_dual_mul_f32 v142, 0x3f116cb1, v90 :: v_dual_add_f32 v81, v57, v81
	v_mul_f32_e32 v140, 0x3df6dbef, v90
	v_mul_f32_e32 v153, 0x3f29c268, v97
	v_dual_mul_f32 v160, 0x3f116cb1, v98 :: v_dual_mul_f32 v167, 0x3f116cb1, v116
	s_delay_alu instid0(VALU_DEP_4)
	v_dual_add_f32 v81, v82, v81 :: v_dual_fmamk_f32 v82, v95, 0x3f29c268, v163
	v_mul_f32_e32 v143, 0xbf52af12, v92
	v_mul_f32_e32 v144, 0xbeb58ec6, v91
	;; [unrolled: 1-line block ×4, first 2 shown]
	v_dual_add_f32 v81, v82, v81 :: v_dual_fmamk_f32 v82, v97, 0xbf52af12, v167
	v_mul_f32_e32 v146, 0xbf788fa5, v91
	v_dual_mul_f32 v157, 0x3df6dbef, v98 :: v_dual_mul_f32 v172, 0x3df6dbef, v115
	v_mul_f32_e32 v175, 0xbf6f5d39, v108
	s_delay_alu instid0(VALU_DEP_4) | instskip(SKIP_1) | instid1(VALU_DEP_3)
	v_dual_add_f32 v81, v82, v81 :: v_dual_fmamk_f32 v82, v99, 0x3f6f5d39, v170
	v_mul_f32_e32 v148, 0xbf788fa5, v94
	v_dual_mul_f32 v150, 0xbeb58ec6, v94 :: v_dual_fmamk_f32 v139, v98, 0xbeb58ec6, v175
	v_mul_f32_e32 v177, 0x3f7e222b, v111
	s_delay_alu instid0(VALU_DEP_4) | instskip(SKIP_3) | instid1(VALU_DEP_4)
	v_dual_add_f32 v81, v82, v81 :: v_dual_fmamk_f32 v82, v101, 0xbf7e222b, v172
	v_mul_f32_e32 v155, 0x3f62ad3f, v96
	v_mul_f32_e32 v176, 0x3df6dbef, v107
	v_dual_mul_f32 v161, 0xbf52af12, v99 :: v_dual_add_f32 v138, v139, v138
	v_dual_add_f32 v82, v82, v81 :: v_dual_fmamk_f32 v81, v92, 0x3f29c268, v174
	v_mul_f32_e32 v196, 0x3f29c268, v103
	v_fmamk_f32 v139, v100, 0x3df6dbef, v177
	v_dual_fmamk_f32 v178, v93, 0xbf7e222b, v176 :: v_dual_mul_f32 v201, 0xbf7e222b, v105
	s_delay_alu instid0(VALU_DEP_4) | instskip(SKIP_2) | instid1(VALU_DEP_3)
	v_dual_add_f32 v81, v57, v81 :: v_dual_mul_f32 v180, 0xbf29c268, v102
	v_sub_f32_e32 v124, v124, v141
	v_mul_f32_e32 v158, 0x3f7e222b, v99
	v_dual_mul_f32 v165, 0xbf3f9e67, v100 :: v_dual_add_f32 v178, v178, v81
	v_dual_mul_f32 v182, 0xbf788fa5, v116 :: v_dual_sub_f32 v129, v129, v147
	v_dual_add_f32 v81, v139, v138 :: v_dual_fmamk_f32 v138, v90, 0xbf3f9e67, v180
	v_add_f32_e32 v124, v57, v124
	v_mul_f32_e32 v185, 0xbf52af12, v104
	v_mul_f32_e32 v179, 0x3f116cb1, v112
	;; [unrolled: 1-line block ×3, first 2 shown]
	v_dual_mul_f32 v188, 0xbeb58ec6, v106 :: v_dual_sub_f32 v113, v113, v143
	v_dual_add_f32 v124, v129, v124 :: v_dual_sub_f32 v129, v132, v151
	v_dual_add_f32 v138, v56, v138 :: v_dual_mul_f32 v189, 0x3eedf032, v108
	v_dual_mul_f32 v191, 0xbf6f5d39, v111 :: v_dual_mul_f32 v194, 0xbf6f5d39, v102
	s_delay_alu instid0(VALU_DEP_2)
	v_dual_add_f32 v113, v57, v113 :: v_dual_add_f32 v138, v184, v138
	v_fmamk_f32 v184, v94, 0x3f116cb1, v185
	v_mul_f32_e32 v193, 0x3f62ad3f, v112
	v_fmamk_f32 v198, v91, 0xbf3f9e67, v196
	v_mul_f32_e32 v199, 0x3eedf032, v104
	v_mul_f32_e32 v186, 0xbeb58ec6, v115
	v_add_f32_e32 v138, v184, v138
	v_fmamk_f32 v184, v96, 0xbf788fa5, v187
	v_add_f32_e32 v120, v140, v120
	v_mul_f32_e32 v102, 0xbeedf032, v102
	v_add_f32_e32 v124, v129, v124
	s_delay_alu instid0(VALU_DEP_4) | instskip(SKIP_3) | instid1(VALU_DEP_3)
	v_dual_sub_f32 v129, v135, v156 :: v_dual_add_f32 v138, v184, v138
	v_fmamk_f32 v184, v98, 0x3f62ad3f, v189
	v_dual_fmamk_f32 v181, v95, 0x3f52af12, v179 :: v_dual_add_f32 v120, v56, v120
	v_dual_add_f32 v58, v58, v56 :: v_dual_fmac_f32 v167, 0x3f52af12, v97
	v_add_f32_e32 v138, v184, v138
	v_fmamk_f32 v184, v100, 0xbeb58ec6, v191
	s_delay_alu instid0(VALU_DEP_4) | instskip(SKIP_1) | instid1(VALU_DEP_3)
	v_dual_mul_f32 v164, 0x3eedf032, v101 :: v_dual_add_f32 v139, v181, v178
	v_mul_f32_e32 v181, 0x3f62ad3f, v119
	v_dual_add_f32 v125, v146, v125 :: v_dual_add_f32 v138, v184, v138
	v_fmamk_f32 v184, v90, 0xbeb58ec6, v194
	v_dual_add_f32 v58, v64, v58 :: v_dual_fmac_f32 v179, 0xbf52af12, v95
	s_delay_alu instid0(VALU_DEP_3) | instskip(NEXT) | instid1(VALU_DEP_3)
	v_dual_add_f32 v120, v125, v120 :: v_dual_mul_f32 v103, 0xbf52af12, v103
	v_add_f32_e32 v184, v56, v184
	v_add_f32_e32 v125, v150, v128
	v_dual_sub_f32 v117, v117, v145 :: v_dual_mul_f32 v200, 0x3f116cb1, v115
	v_add_f32_e32 v110, v144, v110
	s_delay_alu instid0(VALU_DEP_4) | instskip(SKIP_3) | instid1(VALU_DEP_3)
	v_add_f32_e32 v184, v198, v184
	v_fmamk_f32 v198, v94, 0x3f62ad3f, v199
	v_dual_add_f32 v120, v125, v120 :: v_dual_add_f32 v125, v155, v131
	v_add_f32_e32 v113, v117, v113
	v_dual_sub_f32 v117, v121, v149 :: v_dual_add_f32 v184, v198, v184
	v_fmamk_f32 v198, v96, 0x3df6dbef, v201
	v_fmamk_f32 v178, v97, 0xbe750f2a, v182
	v_dual_add_f32 v120, v125, v120 :: v_dual_add_f32 v125, v160, v133
	v_add_f32_e32 v109, v142, v109
	s_delay_alu instid0(VALU_DEP_4) | instskip(NEXT) | instid1(VALU_DEP_4)
	v_add_f32_e32 v147, v198, v184
	v_dual_add_f32 v139, v178, v139 :: v_dual_fmamk_f32 v178, v99, 0xbeedf032, v181
	v_add_f32_e32 v113, v117, v113
	v_dual_sub_f32 v117, v123, v153 :: v_dual_add_f32 v120, v125, v120
	v_add_f32_e32 v109, v56, v109
	s_delay_alu instid0(VALU_DEP_4) | instskip(SKIP_1) | instid1(VALU_DEP_4)
	v_dual_add_f32 v139, v178, v139 :: v_dual_fmamk_f32 v178, v101, 0x3f6f5d39, v186
	v_add_f32_e32 v123, v165, v134
	v_add_f32_e32 v113, v117, v113
	v_mul_f32_e32 v117, 0x3f62ad3f, v106
	v_fmac_f32_e32 v181, 0x3eedf032, v99
	v_dual_add_f32 v139, v178, v139 :: v_dual_fmamk_f32 v178, v92, 0x3f6f5d39, v188
	v_fmac_f32_e32 v188, 0xbf6f5d39, v92
	v_add_f32_e32 v58, v66, v58
	v_mul_f32_e32 v202, 0x3e750f2a, v108
	v_sub_f32_e32 v106, v126, v158
	v_dual_add_f32 v178, v57, v178 :: v_dual_add_f32 v109, v110, v109
	s_delay_alu instid0(VALU_DEP_4) | instskip(SKIP_2) | instid1(VALU_DEP_4)
	v_add_f32_e32 v58, v60, v58
	v_add_f32_e32 v110, v148, v114
	;; [unrolled: 1-line block ×4, first 2 shown]
	v_fmamk_f32 v192, v95, 0xbeedf032, v193
	v_dual_add_f32 v58, v62, v58 :: v_dual_fmac_f32 v193, 0x3eedf032, v95
	v_fmamk_f32 v114, v92, 0x3eedf032, v117
	s_delay_alu instid0(VALU_DEP_3) | instskip(SKIP_1) | instid1(VALU_DEP_4)
	v_dual_mul_f32 v123, 0x3f116cb1, v107 :: v_dual_add_f32 v178, v192, v178
	v_fmamk_f32 v192, v97, 0x3f7e222b, v195
	v_dual_add_f32 v58, v68, v58 :: v_dual_fmac_f32 v195, 0xbf7e222b, v97
	v_mul_f32_e32 v184, 0x3f52af12, v111
	v_add_f32_e32 v106, v106, v113
	s_delay_alu instid0(VALU_DEP_4) | instskip(SKIP_3) | instid1(VALU_DEP_3)
	v_add_f32_e32 v178, v192, v178
	v_dual_fmamk_f32 v192, v99, 0xbe750f2a, v197 :: v_dual_add_f32 v107, v110, v109
	v_add_f32_e32 v109, v152, v118
	v_add_f32_e32 v110, v57, v114
	v_dual_fmamk_f32 v113, v93, 0x3f52af12, v123 :: v_dual_add_f32 v178, v192, v178
	v_fmamk_f32 v192, v101, 0xbf52af12, v200
	v_mul_f32_e32 v112, 0x3df6dbef, v112
	v_dual_add_f32 v58, v70, v58 :: v_dual_fmac_f32 v197, 0x3e750f2a, v99
	v_dual_fmamk_f32 v140, v100, 0x3f116cb1, v184 :: v_dual_add_f32 v59, v59, v57
	s_delay_alu instid0(VALU_DEP_4)
	v_dual_add_f32 v141, v192, v178 :: v_dual_fmamk_f32 v178, v98, 0xbf788fa5, v202
	v_dual_add_f32 v109, v109, v107 :: v_dual_sub_f32 v114, v130, v164
	v_dual_add_f32 v118, v157, v122 :: v_dual_fmac_f32 v159, 0x3eedf032, v93
	v_dual_add_f32 v110, v113, v110 :: v_dual_fmamk_f32 v113, v95, 0x3f7e222b, v112
	v_dual_add_f32 v52, v52, v58 :: v_dual_fmac_f32 v117, 0xbeedf032, v92
	v_fmac_f32_e32 v154, 0xbe750f2a, v92
	v_mul_f32_e32 v116, 0xbeb58ec6, v116
	v_add_f32_e32 v132, v178, v147
	v_add_f32_e32 v107, v114, v106
	v_dual_add_f32 v106, v118, v109 :: v_dual_fmac_f32 v163, 0xbf29c268, v95
	v_dual_add_f32 v109, v162, v127 :: v_dual_add_f32 v110, v113, v110
	s_delay_alu instid0(VALU_DEP_4)
	v_dual_fmamk_f32 v113, v97, 0x3f6f5d39, v116 :: v_dual_add_f32 v140, v140, v132
	v_add_f32_e32 v59, v65, v59
	v_mul_f32_e32 v114, 0xbf3f9e67, v119
	v_sub_f32_e32 v128, v136, v161
	v_add_f32_e32 v106, v109, v106
	v_add_f32_e32 v109, v113, v110
	v_fmamk_f32 v65, v90, 0x3f62ad3f, v102
	v_fmamk_f32 v110, v99, 0x3f29c268, v114
	v_dual_add_f32 v124, v129, v124 :: v_dual_add_f32 v59, v67, v59
	s_delay_alu instid0(VALU_DEP_3) | instskip(NEXT) | instid1(VALU_DEP_2)
	v_dual_mul_f32 v67, 0xbf7e222b, v104 :: v_dual_add_f32 v64, v56, v65
	v_dual_add_f32 v109, v110, v109 :: v_dual_add_f32 v124, v128, v124
	s_delay_alu instid0(VALU_DEP_3) | instskip(SKIP_2) | instid1(VALU_DEP_3)
	v_add_f32_e32 v59, v61, v59
	v_dual_fmamk_f32 v65, v91, 0x3f116cb1, v103 :: v_dual_sub_f32 v128, v137, v168
	v_mul_f32_e32 v61, 0xbf788fa5, v115
	v_dual_fmac_f32 v172, 0x3f7e222b, v101 :: v_dual_add_f32 v59, v63, v59
	s_delay_alu instid0(VALU_DEP_3) | instskip(SKIP_1) | instid1(VALU_DEP_4)
	v_dual_add_f32 v64, v65, v64 :: v_dual_fmamk_f32 v65, v94, 0x3df6dbef, v67
	v_mul_f32_e32 v60, 0xbf6f5d39, v105
	v_fmamk_f32 v63, v101, 0x3e750f2a, v61
	v_mul_f32_e32 v66, 0xbf29c268, v108
	v_fmac_f32_e32 v190, 0x3f29c268, v93
	v_add_f32_e32 v64, v65, v64
	v_dual_add_f32 v65, v69, v59 :: v_dual_fmamk_f32 v62, v96, 0xbeb58ec6, v60
	v_add_f32_e32 v59, v63, v109
	v_fmac_f32_e32 v186, 0xbf6f5d39, v101
	s_delay_alu instid0(VALU_DEP_3) | instskip(NEXT) | instid1(VALU_DEP_4)
	v_dual_add_f32 v52, v54, v52 :: v_dual_add_f32 v63, v71, v65
	v_add_f32_e32 v62, v62, v64
	v_fmamk_f32 v64, v98, 0xbf3f9e67, v66
	s_delay_alu instid0(VALU_DEP_3) | instskip(NEXT) | instid1(VALU_DEP_4)
	v_dual_mul_f32 v65, 0xbe750f2a, v111 :: v_dual_add_f32 v48, v48, v52
	v_add_f32_e32 v53, v53, v63
	s_delay_alu instid0(VALU_DEP_3) | instskip(NEXT) | instid1(VALU_DEP_3)
	v_dual_fmac_f32 v123, 0xbf52af12, v93 :: v_dual_add_f32 v62, v64, v62
	v_fmamk_f32 v63, v100, 0xbf788fa5, v65
	s_delay_alu instid0(VALU_DEP_3) | instskip(SKIP_1) | instid1(VALU_DEP_3)
	v_dual_fmac_f32 v174, 0xbf29c268, v92 :: v_dual_add_f32 v53, v55, v53
	v_dual_add_f32 v55, v57, v154 :: v_dual_fmac_f32 v112, 0xbf7e222b, v95
	v_add_f32_e32 v58, v63, v62
	v_fma_f32 v62, 0xbf788fa5, v90, -v166
	s_delay_alu instid0(VALU_DEP_4) | instskip(NEXT) | instid1(VALU_DEP_4)
	v_add_f32_e32 v49, v49, v53
	v_add_f32_e32 v53, v159, v55
	v_fma_f32 v55, 0x3f62ad3f, v91, -v169
	v_add_f32_e32 v48, v50, v48
	s_delay_alu instid0(VALU_DEP_4) | instskip(NEXT) | instid1(VALU_DEP_4)
	v_dual_add_f32 v54, v56, v62 :: v_dual_add_f32 v49, v51, v49
	v_add_f32_e32 v51, v163, v53
	v_fma_f32 v53, 0xbf3f9e67, v94, -v171
	v_fmac_f32_e32 v116, 0xbf6f5d39, v97
	s_delay_alu instid0(VALU_DEP_4)
	v_add_f32_e32 v52, v55, v54
	v_fmac_f32_e32 v114, 0xbf29c268, v99
	v_add_f32_e32 v50, v167, v51
	v_fmac_f32_e32 v170, 0xbf6f5d39, v99
	v_add_f32_e32 v54, v57, v174
	v_add_f32_e32 v51, v53, v52
	v_fma_f32 v52, 0x3f116cb1, v96, -v173
	v_fma_f32 v53, 0xbeb58ec6, v98, -v175
	v_dual_add_f32 v50, v170, v50 :: v_dual_fmac_f32 v61, 0xbe750f2a, v101
	v_fmac_f32_e32 v200, 0x3f52af12, v101
	s_delay_alu instid0(VALU_DEP_4) | instskip(NEXT) | instid1(VALU_DEP_3)
	v_add_f32_e32 v52, v52, v51
	v_dual_fmac_f32 v176, 0x3f7e222b, v93 :: v_dual_add_f32 v51, v172, v50
	v_fma_f32 v50, 0xbf3f9e67, v90, -v180
	v_fma_f32 v62, 0x3df6dbef, v91, -v183
	s_delay_alu instid0(VALU_DEP_4) | instskip(SKIP_3) | instid1(VALU_DEP_3)
	v_add_f32_e32 v52, v53, v52
	v_fma_f32 v53, 0x3df6dbef, v100, -v177
	v_add_f32_e32 v54, v176, v54
	v_dual_add_f32 v55, v56, v50 :: v_dual_fmac_f32 v182, 0x3e750f2a, v97
	v_dual_add_f32 v49, v74, v49 :: v_dual_add_f32 v50, v53, v52
	s_delay_alu instid0(VALU_DEP_2) | instskip(SKIP_3) | instid1(VALU_DEP_4)
	v_dual_add_f32 v52, v179, v54 :: v_dual_add_f32 v53, v62, v55
	v_fma_f32 v54, 0x3f116cb1, v94, -v185
	v_add_f32_e32 v55, v57, v188
	v_fma_f32 v62, 0x3f62ad3f, v98, -v189
	v_add_f32_e32 v52, v182, v52
	;; [unrolled: 2-line block ×3, first 2 shown]
	v_fma_f32 v54, 0xbf788fa5, v96, -v187
	s_delay_alu instid0(VALU_DEP_4) | instskip(SKIP_1) | instid1(VALU_DEP_3)
	v_dual_add_f32 v55, v190, v55 :: v_dual_add_f32 v52, v181, v52
	v_add_f32_e32 v57, v57, v117
	v_dual_add_f32 v121, v128, v124 :: v_dual_add_f32 v54, v54, v53
	s_delay_alu instid0(VALU_DEP_3) | instskip(NEXT) | instid1(VALU_DEP_4)
	v_add_f32_e32 v55, v193, v55
	v_add_f32_e32 v53, v186, v52
	v_fma_f32 v52, 0xbeb58ec6, v90, -v194
	s_delay_alu instid0(VALU_DEP_4) | instskip(SKIP_2) | instid1(VALU_DEP_4)
	v_dual_add_f32 v57, v123, v57 :: v_dual_add_f32 v54, v62, v54
	v_fma_f32 v62, 0xbeb58ec6, v100, -v191
	v_add_f32_e32 v55, v195, v55
	v_add_f32_e32 v63, v56, v52
	s_delay_alu instid0(VALU_DEP_3) | instskip(NEXT) | instid1(VALU_DEP_3)
	v_dual_add_f32 v57, v112, v57 :: v_dual_add_f32 v52, v62, v54
	v_add_f32_e32 v54, v197, v55
	v_fma_f32 v55, 0x3f62ad3f, v90, -v102
	s_delay_alu instid0(VALU_DEP_4)
	v_add_f32_e32 v62, v64, v63
	v_fma_f32 v63, 0x3f62ad3f, v94, -v199
	v_add_f32_e32 v57, v116, v57
	v_fma_f32 v64, 0xbf788fa5, v100, -v65
	;; [unrolled: 2-line block ×4, first 2 shown]
	v_add_f32_e32 v57, v114, v57
	s_delay_alu instid0(VALU_DEP_4)
	v_add_f32_e32 v55, v56, v55
	v_fma_f32 v56, 0x3df6dbef, v94, -v67
	v_add_f32_e32 v48, v73, v48
	v_add_f32_e32 v62, v63, v62
	v_fma_f32 v63, 0xbf788fa5, v98, -v202
	v_add_f32_e32 v57, v61, v57
	v_add_f32_e32 v55, v56, v55
	v_fma_f32 v56, 0xbeb58ec6, v96, -v60
	s_delay_alu instid0(VALU_DEP_4) | instskip(SKIP_2) | instid1(VALU_DEP_4)
	v_add_f32_e32 v60, v63, v62
	v_and_b32_e32 v63, 0xffff, v86
	v_fma_f32 v62, 0x3f116cb1, v100, -v184
	v_add_f32_e32 v55, v56, v55
	v_fma_f32 v56, 0xbf3f9e67, v98, -v66
	s_delay_alu instid0(VALU_DEP_4) | instskip(NEXT) | instid1(VALU_DEP_2)
	v_lshlrev_b32_e32 v63, 3, v63
	v_add_f32_e32 v56, v56, v55
	v_dual_add_f32 v55, v200, v54 :: v_dual_add_f32 v54, v62, v60
	s_delay_alu instid0(VALU_DEP_2)
	v_add_f32_e32 v56, v64, v56
	ds_store_2addr_b64 v63, v[48:49], v[58:59] offset1:1
	ds_store_2addr_b64 v63, v[106:107], v[120:121] offset0:2 offset1:3
	ds_store_2addr_b64 v63, v[140:141], v[138:139] offset0:4 offset1:5
	;; [unrolled: 1-line block ×5, first 2 shown]
	ds_store_b64 v63, v[56:57] offset:96
.LBB0_17:
	s_or_b32 exec_lo, exec_lo, s1
	v_add_nc_u32_e32 v68, 0xc00, v85
	s_waitcnt lgkmcnt(0)
	s_barrier
	buffer_gl0_inv
	v_add_nc_u32_e32 v70, 0x2400, v85
	ds_load_2addr_b64 v[48:51], v68 offset0:6 offset1:201
	v_add_nc_u32_e32 v69, 0x1800, v85
	s_waitcnt lgkmcnt(0)
	v_dual_mul_f32 v86, v9, v51 :: v_dual_add_nc_u32 v71, 0x3000, v85
	ds_load_2addr_b64 v[52:55], v69 offset0:12 offset1:207
	ds_load_2addr_b64 v[56:59], v70 offset0:18 offset1:213
	;; [unrolled: 1-line block ×3, first 2 shown]
	ds_load_2addr_b64 v[64:67], v85 offset1:195
	s_waitcnt lgkmcnt(0)
	s_barrier
	buffer_gl0_inv
	v_mul_f32_e32 v9, v9, v50
	v_fmac_f32_e32 v86, v8, v50
	v_mul_f32_e32 v90, v11, v55
	v_mul_f32_e32 v74, v15, v53
	;; [unrolled: 1-line block ×6, first 2 shown]
	v_dual_mul_f32 v73, v13, v49 :: v_dual_fmac_f32 v74, v14, v52
	v_mul_f32_e32 v13, v13, v48
	v_mul_f32_e32 v7, v7, v60
	v_fmac_f32_e32 v82, v6, v60
	s_delay_alu instid0(VALU_DEP_4) | instskip(NEXT) | instid1(VALU_DEP_4)
	v_dual_fmac_f32 v73, v12, v48 :: v_dual_fmac_f32 v90, v10, v54
	v_fma_f32 v12, v12, v49, -v13
	v_fma_f32 v13, v14, v53, -v15
	;; [unrolled: 1-line block ×3, first 2 shown]
	v_fmac_f32_e32 v81, v4, v56
	v_fma_f32 v14, v4, v57, -v5
	v_fma_f32 v49, v8, v51, -v9
	v_dual_mul_f32 v51, v1, v59 :: v_dual_add_f32 v6, v64, v73
	v_sub_f32_e32 v7, v12, v15
	v_mul_f32_e32 v5, v1, v58
	v_sub_f32_e32 v9, v13, v14
	s_delay_alu instid0(VALU_DEP_4) | instskip(SKIP_1) | instid1(VALU_DEP_4)
	v_dual_fmac_f32 v51, v0, v58 :: v_dual_add_f32 v48, v65, v12
	v_add_f32_e32 v50, v13, v14
	v_fma_f32 v0, v0, v59, -v5
	v_add_f32_e32 v5, v6, v74
	v_sub_f32_e32 v6, v73, v74
	v_dual_mul_f32 v11, v11, v54 :: v_dual_add_f32 v4, v74, v81
	v_dual_mul_f32 v53, v3, v63 :: v_dual_sub_f32 v8, v82, v81
	v_mul_f32_e32 v3, v3, v62
	s_delay_alu instid0(VALU_DEP_3) | instskip(NEXT) | instid1(VALU_DEP_4)
	v_fma_f32 v52, v10, v55, -v11
	v_fma_f32 v1, -0.5, v4, v64
	s_delay_alu instid0(VALU_DEP_4) | instskip(NEXT) | instid1(VALU_DEP_4)
	v_dual_add_f32 v10, v73, v82 :: v_dual_add_f32 v11, v6, v8
	v_fma_f32 v3, v2, v63, -v3
	v_sub_f32_e32 v55, v15, v14
	s_delay_alu instid0(VALU_DEP_4) | instskip(NEXT) | instid1(VALU_DEP_4)
	v_fmamk_f32 v4, v7, 0xbf737871, v1
	v_fma_f32 v6, -0.5, v10, v64
	v_fmac_f32_e32 v1, 0x3f737871, v7
	s_delay_alu instid0(VALU_DEP_3) | instskip(SKIP_1) | instid1(VALU_DEP_4)
	v_dual_fmac_f32 v4, 0xbf167918, v9 :: v_dual_fmac_f32 v53, v2, v62
	v_sub_f32_e32 v2, v74, v73
	v_fmamk_f32 v10, v9, 0x3f737871, v6
	v_add_f32_e32 v5, v5, v81
	v_fmac_f32_e32 v1, 0x3f167918, v9
	v_dual_fmac_f32 v6, 0xbf737871, v9 :: v_dual_sub_f32 v57, v90, v51
	s_delay_alu instid0(VALU_DEP_4) | instskip(NEXT) | instid1(VALU_DEP_4)
	v_fmac_f32_e32 v10, 0xbf167918, v7
	v_add_f32_e32 v8, v5, v82
	v_dual_sub_f32 v5, v81, v82 :: v_dual_fmac_f32 v4, 0x3e9e377a, v11
	v_add_f32_e32 v56, v86, v53
	s_delay_alu instid0(VALU_DEP_2) | instskip(SKIP_3) | instid1(VALU_DEP_4)
	v_add_f32_e32 v54, v2, v5
	v_add_f32_e32 v5, v48, v13
	v_fma_f32 v2, -0.5, v50, v65
	v_dual_sub_f32 v48, v73, v82 :: v_dual_fmac_f32 v1, 0x3e9e377a, v11
	v_fmac_f32_e32 v10, 0x3e9e377a, v54
	s_delay_alu instid0(VALU_DEP_4) | instskip(NEXT) | instid1(VALU_DEP_3)
	v_dual_fmac_f32 v6, 0x3f167918, v7 :: v_dual_add_f32 v9, v5, v14
	v_dual_fmamk_f32 v5, v48, 0x3f737871, v2 :: v_dual_sub_f32 v50, v74, v81
	v_dual_sub_f32 v11, v12, v13 :: v_dual_fmac_f32 v2, 0xbf737871, v48
	s_delay_alu instid0(VALU_DEP_3) | instskip(NEXT) | instid1(VALU_DEP_3)
	v_dual_add_f32 v7, v12, v15 :: v_dual_fmac_f32 v6, 0x3e9e377a, v54
	v_dual_sub_f32 v12, v13, v12 :: v_dual_fmac_f32 v5, 0x3f167918, v50
	s_delay_alu instid0(VALU_DEP_3) | instskip(NEXT) | instid1(VALU_DEP_3)
	v_add_f32_e32 v54, v11, v55
	v_fma_f32 v7, -0.5, v7, v65
	v_dual_add_f32 v9, v9, v15 :: v_dual_fmac_f32 v2, 0xbf167918, v50
	v_sub_f32_e32 v13, v14, v15
	s_delay_alu instid0(VALU_DEP_4) | instskip(NEXT) | instid1(VALU_DEP_3)
	v_dual_fmac_f32 v5, 0x3e9e377a, v54 :: v_dual_add_f32 v14, v90, v51
	v_dual_sub_f32 v55, v49, v3 :: v_dual_fmac_f32 v2, 0x3e9e377a, v54
	s_delay_alu instid0(VALU_DEP_3) | instskip(SKIP_1) | instid1(VALU_DEP_4)
	v_add_f32_e32 v13, v12, v13
	v_sub_f32_e32 v54, v52, v0
	v_fma_f32 v12, -0.5, v14, v66
	v_fmamk_f32 v11, v50, 0xbf737871, v7
	v_fmac_f32_e32 v7, 0x3f737871, v50
	v_dual_add_f32 v15, v66, v86 :: v_dual_sub_f32 v50, v53, v51
	s_delay_alu instid0(VALU_DEP_4) | instskip(SKIP_3) | instid1(VALU_DEP_4)
	v_fmamk_f32 v14, v55, 0xbf737871, v12
	v_fmac_f32_e32 v12, 0x3f737871, v55
	v_fmac_f32_e32 v11, 0x3f167918, v48
	v_dual_fmac_f32 v7, 0xbf167918, v48 :: v_dual_sub_f32 v48, v86, v90
	v_fmac_f32_e32 v14, 0xbf167918, v54
	s_delay_alu instid0(VALU_DEP_4) | instskip(NEXT) | instid1(VALU_DEP_4)
	v_fmac_f32_e32 v12, 0x3f167918, v54
	v_fmac_f32_e32 v11, 0x3e9e377a, v13
	v_fma_f32 v66, -0.5, v56, v66
	v_add_f32_e32 v50, v48, v50
	v_add_f32_e32 v15, v15, v90
	v_fmac_f32_e32 v7, 0x3e9e377a, v13
	s_delay_alu instid0(VALU_DEP_3) | instskip(SKIP_1) | instid1(VALU_DEP_4)
	v_dual_add_f32 v13, v52, v0 :: v_dual_fmac_f32 v14, 0x3e9e377a, v50
	v_fmac_f32_e32 v12, 0x3e9e377a, v50
	v_dual_fmamk_f32 v50, v54, 0x3f737871, v66 :: v_dual_add_f32 v15, v15, v51
	v_fmac_f32_e32 v66, 0xbf737871, v54
	s_delay_alu instid0(VALU_DEP_4) | instskip(SKIP_4) | instid1(VALU_DEP_1)
	v_fma_f32 v13, -0.5, v13, v67
	v_sub_f32_e32 v56, v51, v53
	v_add_f32_e32 v54, v67, v49
	v_dual_add_f32 v48, v15, v53 :: v_dual_sub_f32 v15, v90, v86
	v_dual_sub_f32 v53, v86, v53 :: v_dual_fmac_f32 v50, 0xbf167918, v55
	v_dual_add_f32 v56, v15, v56 :: v_dual_fmamk_f32 v15, v53, 0x3f737871, v13
	v_fmac_f32_e32 v66, 0x3f167918, v55
	v_dual_add_f32 v55, v49, v3 :: v_dual_add_f32 v54, v54, v52
	v_fmac_f32_e32 v13, 0xbf737871, v53
	s_delay_alu instid0(VALU_DEP_4) | instskip(NEXT) | instid1(VALU_DEP_3)
	v_fmac_f32_e32 v15, 0x3f167918, v57
	v_dual_fmac_f32 v67, -0.5, v55 :: v_dual_add_f32 v54, v54, v0
	v_fmac_f32_e32 v66, 0x3e9e377a, v56
	v_sub_f32_e32 v55, v49, v52
	v_dual_fmac_f32 v50, 0x3e9e377a, v56 :: v_dual_sub_f32 v49, v52, v49
	s_delay_alu instid0(VALU_DEP_4) | instskip(SKIP_1) | instid1(VALU_DEP_2)
	v_dual_sub_f32 v56, v3, v0 :: v_dual_fmamk_f32 v51, v57, 0xbf737871, v67
	v_dual_sub_f32 v0, v0, v3 :: v_dual_fmac_f32 v67, 0x3f737871, v57
	v_dual_fmac_f32 v13, 0xbf167918, v57 :: v_dual_add_f32 v52, v55, v56
	s_delay_alu instid0(VALU_DEP_2) | instskip(NEXT) | instid1(VALU_DEP_3)
	v_dual_fmac_f32 v51, 0x3f167918, v53 :: v_dual_add_f32 v0, v49, v0
	v_fmac_f32_e32 v67, 0xbf167918, v53
	v_add_f32_e32 v49, v54, v3
	s_delay_alu instid0(VALU_DEP_4)
	v_fmac_f32_e32 v15, 0x3e9e377a, v52
	v_fmac_f32_e32 v13, 0x3e9e377a, v52
	;; [unrolled: 1-line block ×4, first 2 shown]
	ds_store_2addr_b64 v88, v[8:9], v[4:5] offset1:13
	ds_store_2addr_b64 v88, v[10:11], v[6:7] offset0:26 offset1:39
	ds_store_b64 v88, v[1:2] offset:416
	ds_store_2addr_b64 v87, v[48:49], v[14:15] offset1:13
	ds_store_2addr_b64 v87, v[50:51], v[66:67] offset0:26 offset1:39
	ds_store_b64 v87, v[12:13] offset:416
	s_waitcnt lgkmcnt(0)
	s_barrier
	buffer_gl0_inv
	ds_load_2addr_b64 v[0:3], v85 offset1:195
	ds_load_2addr_b64 v[4:7], v68 offset0:6 offset1:201
	ds_load_2addr_b64 v[8:11], v69 offset0:12 offset1:207
	;; [unrolled: 1-line block ×4, first 2 shown]
	s_waitcnt lgkmcnt(0)
	s_barrier
	buffer_gl0_inv
	v_mul_f32_e32 v52, v29, v3
	v_mul_f32_e32 v29, v29, v2
	s_delay_alu instid0(VALU_DEP_2) | instskip(SKIP_1) | instid1(VALU_DEP_3)
	v_fmac_f32_e32 v52, v28, v2
	v_mul_f32_e32 v2, v31, v4
	v_fma_f32 v3, v28, v3, -v29
	s_delay_alu instid0(VALU_DEP_2) | instskip(SKIP_3) | instid1(VALU_DEP_3)
	v_fma_f32 v2, v30, v5, -v2
	v_mul_f32_e32 v53, v31, v5
	v_mul_f32_e32 v5, v27, v9
	;; [unrolled: 1-line block ×3, first 2 shown]
	v_dual_fmac_f32 v53, v30, v4 :: v_dual_mul_f32 v4, v25, v7
	v_mul_f32_e32 v25, v25, v6
	s_delay_alu instid0(VALU_DEP_4) | instskip(NEXT) | instid1(VALU_DEP_4)
	v_fmac_f32_e32 v5, v26, v8
	v_fma_f32 v8, v26, v9, -v27
	v_mul_f32_e32 v9, v21, v10
	v_fmac_f32_e32 v4, v24, v6
	v_fma_f32 v6, v24, v7, -v25
	v_mul_f32_e32 v7, v21, v11
	v_mul_f32_e32 v21, v23, v13
	s_delay_alu instid0(VALU_DEP_2) | instskip(SKIP_1) | instid1(VALU_DEP_2)
	v_dual_fmac_f32 v7, v20, v10 :: v_dual_mul_f32 v10, v23, v12
	v_mul_f32_e32 v23, v17, v15
	v_fma_f32 v10, v22, v13, -v10
	s_delay_alu instid0(VALU_DEP_4) | instskip(NEXT) | instid1(VALU_DEP_3)
	v_fmac_f32_e32 v21, v22, v12
	v_fmac_f32_e32 v23, v16, v14
	v_mul_f32_e32 v12, v17, v14
	v_mul_f32_e32 v14, v19, v49
	v_add_f32_e32 v28, v8, v10
	s_delay_alu instid0(VALU_DEP_3) | instskip(NEXT) | instid1(VALU_DEP_3)
	v_fma_f32 v12, v16, v15, -v12
	v_fmac_f32_e32 v14, v18, v48
	s_delay_alu instid0(VALU_DEP_1) | instskip(SKIP_3) | instid1(VALU_DEP_2)
	v_sub_f32_e32 v22, v14, v21
	v_fma_f32 v9, v20, v11, -v9
	v_dual_mul_f32 v11, v19, v48 :: v_dual_sub_f32 v26, v21, v14
	v_dual_add_f32 v19, v0, v53 :: v_dual_add_f32 v24, v53, v14
	v_fma_f32 v11, v18, v49, -v11
	v_sub_f32_e32 v18, v8, v10
	s_delay_alu instid0(VALU_DEP_2) | instskip(NEXT) | instid1(VALU_DEP_4)
	v_dual_mul_f32 v25, v76, v50 :: v_dual_sub_f32 v20, v2, v11
	v_add_f32_e32 v15, v19, v5
	v_sub_f32_e32 v19, v53, v5
	s_delay_alu instid0(VALU_DEP_1) | instskip(SKIP_1) | instid1(VALU_DEP_1)
	v_add_f32_e32 v19, v19, v22
	v_fma_f32 v22, -0.5, v24, v0
	v_dual_add_f32 v13, v5, v21 :: v_dual_fmamk_f32 v24, v18, 0x3f737871, v22
	v_fmac_f32_e32 v22, 0xbf737871, v18
	s_delay_alu instid0(VALU_DEP_2) | instskip(NEXT) | instid1(VALU_DEP_3)
	v_fma_f32 v13, -0.5, v13, v0
	v_fmac_f32_e32 v24, 0xbf167918, v20
	s_delay_alu instid0(VALU_DEP_3) | instskip(NEXT) | instid1(VALU_DEP_3)
	v_fmac_f32_e32 v22, 0x3f167918, v20
	v_fmamk_f32 v16, v20, 0xbf737871, v13
	v_dual_fmac_f32 v13, 0x3f737871, v20 :: v_dual_add_f32 v20, v2, v11
	v_fma_f32 v0, v75, v51, -v25
	v_sub_f32_e32 v25, v5, v53
	v_sub_f32_e32 v5, v5, v21
	v_add_f32_e32 v27, v1, v2
	v_fma_f32 v20, -0.5, v20, v1
	v_mul_f32_e32 v17, v76, v51
	v_add_f32_e32 v25, v25, v26
	v_fma_f32 v26, -0.5, v28, v1
	v_dual_add_f32 v15, v15, v21 :: v_dual_fmac_f32 v16, 0xbf167918, v18
	v_dual_sub_f32 v21, v2, v8 :: v_dual_sub_f32 v2, v8, v2
	v_fmac_f32_e32 v13, 0x3f167918, v18
	s_delay_alu instid0(VALU_DEP_3) | instskip(SKIP_4) | instid1(VALU_DEP_4)
	v_add_f32_e32 v15, v15, v14
	v_add_f32_e32 v18, v27, v8
	v_sub_f32_e32 v8, v10, v11
	v_sub_f32_e32 v14, v53, v14
	;; [unrolled: 1-line block ×3, first 2 shown]
	v_add_f32_e32 v18, v18, v10
	v_add_f32_e32 v10, v52, v4
	s_delay_alu instid0(VALU_DEP_3)
	v_dual_add_f32 v2, v2, v8 :: v_dual_add_f32 v1, v21, v27
	v_fmamk_f32 v21, v5, 0xbf737871, v20
	v_fmac_f32_e32 v20, 0x3f737871, v5
	v_fmac_f32_e32 v22, 0x3e9e377a, v25
	;; [unrolled: 1-line block ×4, first 2 shown]
	v_dual_fmamk_f32 v19, v14, 0x3f737871, v26 :: v_dual_add_f32 v8, v7, v23
	v_fmac_f32_e32 v26, 0xbf737871, v14
	v_dual_fmac_f32 v17, v75, v50 :: v_dual_fmac_f32 v24, 0x3e9e377a, v25
	v_fmac_f32_e32 v20, 0xbf167918, v14
	s_delay_alu instid0(VALU_DEP_4) | instskip(NEXT) | instid1(VALU_DEP_4)
	v_fmac_f32_e32 v19, 0x3f167918, v5
	v_dual_fmac_f32 v26, 0xbf167918, v5 :: v_dual_add_f32 v5, v10, v7
	s_delay_alu instid0(VALU_DEP_4) | instskip(NEXT) | instid1(VALU_DEP_3)
	v_dual_fmac_f32 v21, 0x3f167918, v14 :: v_dual_sub_f32 v28, v23, v17
	v_fmac_f32_e32 v19, 0x3e9e377a, v1
	s_delay_alu instid0(VALU_DEP_3) | instskip(NEXT) | instid1(VALU_DEP_4)
	v_fmac_f32_e32 v26, 0x3e9e377a, v1
	v_dual_sub_f32 v10, v6, v0 :: v_dual_add_f32 v1, v5, v23
	v_fma_f32 v5, -0.5, v8, v52
	v_dual_add_f32 v8, v4, v17 :: v_dual_add_f32 v25, v18, v11
	v_fmac_f32_e32 v20, 0x3e9e377a, v2
	s_delay_alu instid0(VALU_DEP_3) | instskip(NEXT) | instid1(VALU_DEP_3)
	v_fmamk_f32 v14, v10, 0xbf737871, v5
	v_fmac_f32_e32 v52, -0.5, v8
	v_dual_sub_f32 v8, v17, v23 :: v_dual_fmac_f32 v21, 0x3e9e377a, v2
	v_dual_sub_f32 v2, v4, v7 :: v_dual_sub_f32 v27, v7, v4
	v_add_f32_e32 v11, v1, v17
	v_dual_fmac_f32 v5, 0x3f737871, v10 :: v_dual_sub_f32 v4, v4, v17
	s_delay_alu instid0(VALU_DEP_3) | instskip(SKIP_1) | instid1(VALU_DEP_1)
	v_dual_sub_f32 v7, v7, v23 :: v_dual_add_f32 v2, v2, v8
	v_sub_f32_e32 v1, v9, v12
	v_dual_sub_f32 v17, v0, v12 :: v_dual_fmac_f32 v14, 0xbf167918, v1
	v_add_f32_e32 v8, v27, v28
	s_delay_alu instid0(VALU_DEP_2) | instskip(SKIP_3) | instid1(VALU_DEP_3)
	v_dual_sub_f32 v27, v12, v0 :: v_dual_fmac_f32 v14, 0x3e9e377a, v2
	v_fmamk_f32 v18, v1, 0x3f737871, v52
	v_fmac_f32_e32 v52, 0xbf737871, v1
	v_fmac_f32_e32 v5, 0x3f167918, v1
	v_dual_add_f32 v1, v9, v12 :: v_dual_fmac_f32 v18, 0xbf167918, v10
	s_delay_alu instid0(VALU_DEP_3) | instskip(NEXT) | instid1(VALU_DEP_3)
	v_fmac_f32_e32 v52, 0x3f167918, v10
	v_dual_fmac_f32 v5, 0x3e9e377a, v2 :: v_dual_add_f32 v2, v6, v0
	s_delay_alu instid0(VALU_DEP_3) | instskip(NEXT) | instid1(VALU_DEP_4)
	v_fma_f32 v1, -0.5, v1, v3
	v_fmac_f32_e32 v18, 0x3e9e377a, v8
	v_add_f32_e32 v10, v3, v6
	s_delay_alu instid0(VALU_DEP_4)
	v_dual_fmac_f32 v52, 0x3e9e377a, v8 :: v_dual_fmac_f32 v3, -0.5, v2
	v_sub_f32_e32 v2, v6, v9
	v_sub_f32_e32 v6, v9, v6
	v_fmamk_f32 v8, v4, 0x3f737871, v1
	v_fmac_f32_e32 v1, 0xbf737871, v4
	v_fmamk_f32 v23, v7, 0xbf737871, v3
	v_dual_fmac_f32 v3, 0x3f737871, v7 :: v_dual_add_f32 v2, v2, v17
	s_delay_alu instid0(VALU_DEP_2) | instskip(NEXT) | instid1(VALU_DEP_2)
	v_dual_add_f32 v6, v6, v27 :: v_dual_fmac_f32 v23, 0x3f167918, v4
	v_dual_fmac_f32 v3, 0xbf167918, v4 :: v_dual_add_f32 v4, v10, v9
	s_delay_alu instid0(VALU_DEP_2) | instskip(NEXT) | instid1(VALU_DEP_2)
	v_dual_sub_f32 v10, v15, v11 :: v_dual_fmac_f32 v23, 0x3e9e377a, v6
	v_dual_add_f32 v4, v4, v12 :: v_dual_fmac_f32 v3, 0x3e9e377a, v6
	s_delay_alu instid0(VALU_DEP_2) | instskip(NEXT) | instid1(VALU_DEP_2)
	v_mul_f32_e32 v17, 0xbf737871, v23
	v_dual_mul_f32 v23, 0x3e9e377a, v23 :: v_dual_add_f32 v28, v4, v0
	v_add_f32_e32 v0, v15, v11
	v_fmac_f32_e32 v1, 0xbf167918, v7
	s_delay_alu instid0(VALU_DEP_3) | instskip(NEXT) | instid1(VALU_DEP_2)
	v_sub_f32_e32 v11, v25, v28
	v_fmac_f32_e32 v1, 0x3e9e377a, v2
	s_delay_alu instid0(VALU_DEP_1) | instskip(SKIP_2) | instid1(VALU_DEP_3)
	v_mul_f32_e32 v29, 0xbf167918, v1
	v_dual_mul_f32 v48, 0xbf4f1bbd, v1 :: v_dual_add_f32 v1, v25, v28
	v_fmac_f32_e32 v8, 0x3f167918, v7
	v_fmac_f32_e32 v29, 0xbf4f1bbd, v5
	;; [unrolled: 1-line block ×3, first 2 shown]
	s_delay_alu instid0(VALU_DEP_4) | instskip(NEXT) | instid1(VALU_DEP_2)
	v_fmac_f32_e32 v48, 0x3f167918, v5
	v_dual_fmac_f32 v8, 0x3e9e377a, v2 :: v_dual_add_f32 v5, v21, v23
	s_delay_alu instid0(VALU_DEP_2) | instskip(NEXT) | instid1(VALU_DEP_2)
	v_add_f32_e32 v9, v26, v48
	v_mul_f32_e32 v12, 0xbf167918, v8
	s_delay_alu instid0(VALU_DEP_1) | instskip(NEXT) | instid1(VALU_DEP_1)
	v_fmac_f32_e32 v12, 0x3f4f1bbd, v14
	v_dual_add_f32 v2, v16, v12 :: v_dual_fmac_f32 v17, 0x3e9e377a, v18
	v_mul_f32_e32 v31, 0xbe9e377a, v3
	s_delay_alu instid0(VALU_DEP_1) | instskip(SKIP_3) | instid1(VALU_DEP_3)
	v_fmac_f32_e32 v31, 0x3f737871, v52
	v_mul_f32_e32 v30, 0x3f4f1bbd, v8
	v_dual_add_f32 v8, v13, v29 :: v_dual_mul_f32 v27, 0xbf737871, v3
	v_add_f32_e32 v4, v24, v17
	v_dual_add_f32 v7, v20, v31 :: v_dual_fmac_f32 v30, 0x3f167918, v14
	v_sub_f32_e32 v14, v16, v12
	s_delay_alu instid0(VALU_DEP_4) | instskip(NEXT) | instid1(VALU_DEP_3)
	v_dual_fmac_f32 v27, 0xbe9e377a, v52 :: v_dual_sub_f32 v16, v24, v17
	v_add_f32_e32 v3, v19, v30
	s_delay_alu instid0(VALU_DEP_2)
	v_dual_sub_f32 v15, v19, v30 :: v_dual_add_f32 v6, v22, v27
	v_sub_f32_e32 v18, v22, v27
	v_sub_f32_e32 v12, v13, v29
	;; [unrolled: 1-line block ×3, first 2 shown]
	v_dual_sub_f32 v19, v20, v31 :: v_dual_add_nc_u32 v20, 0x800, v89
	v_sub_f32_e32 v13, v26, v48
	v_add_nc_u32_e32 v21, 0x1000, v89
	ds_store_2addr_b64 v89, v[0:1], v[2:3] offset1:65
	ds_store_2addr_b64 v89, v[4:5], v[6:7] offset0:130 offset1:195
	ds_store_2addr_b64 v20, v[8:9], v[10:11] offset0:4 offset1:69
	;; [unrolled: 1-line block ×4, first 2 shown]
	v_add_nc_u32_e32 v20, 0x1400, v85
	v_add_nc_u32_e32 v21, 0x2800, v85
	s_waitcnt lgkmcnt(0)
	s_barrier
	buffer_gl0_inv
	ds_load_2addr_b64 v[0:3], v85 offset1:195
	ds_load_2addr_b64 v[8:11], v20 offset0:10 offset1:205
	ds_load_2addr_b64 v[4:7], v21 offset0:20 offset1:215
	ds_load_b64 v[14:15], v85 offset:3120
	ds_load_b64 v[18:19], v85 offset:8320
	;; [unrolled: 1-line block ×3, first 2 shown]
	s_and_saveexec_b32 s1, s0
	s_cbranch_execz .LBB0_19
; %bb.18:
	ds_load_b64 v[12:13], v85 offset:4680
	ds_load_b64 v[79:80], v85 offset:9880
	;; [unrolled: 1-line block ×3, first 2 shown]
.LBB0_19:
	s_or_b32 exec_lo, exec_lo, s1
	s_waitcnt lgkmcnt(3)
	v_dual_mul_f32 v22, v45, v9 :: v_dual_mul_f32 v25, v47, v4
	v_dual_mul_f32 v23, v45, v8 :: v_dual_mul_f32 v24, v47, v5
	s_waitcnt lgkmcnt(0)
	s_delay_alu instid0(VALU_DEP_2) | instskip(NEXT) | instid1(VALU_DEP_3)
	v_dual_mul_f32 v27, v43, v17 :: v_dual_fmac_f32 v22, v44, v8
	v_fma_f32 v5, v46, v5, -v25
	s_delay_alu instid0(VALU_DEP_3) | instskip(SKIP_3) | instid1(VALU_DEP_3)
	v_fma_f32 v8, v44, v9, -v23
	v_dual_mul_f32 v9, v37, v11 :: v_dual_fmac_f32 v24, v46, v4
	v_dual_mul_f32 v23, v39, v7 :: v_dual_mul_f32 v4, v37, v10
	v_mul_f32_e32 v25, v41, v19
	v_fmac_f32_e32 v9, v36, v10
	v_mul_f32_e32 v10, v39, v6
	s_delay_alu instid0(VALU_DEP_4) | instskip(SKIP_4) | instid1(VALU_DEP_3)
	v_fmac_f32_e32 v23, v38, v6
	v_fma_f32 v11, v36, v11, -v4
	v_dual_mul_f32 v4, v41, v18 :: v_dual_fmac_f32 v27, v42, v16
	v_dual_fmac_f32 v25, v40, v18 :: v_dual_mul_f32 v6, v43, v16
	v_fma_f32 v26, v38, v7, -v10
	v_fma_f32 v18, v40, v19, -v4
	v_dual_add_f32 v4, v22, v24 :: v_dual_add_f32 v7, v0, v22
	s_delay_alu instid0(VALU_DEP_4) | instskip(SKIP_2) | instid1(VALU_DEP_4)
	v_fma_f32 v17, v42, v17, -v6
	v_add_f32_e32 v6, v8, v5
	v_sub_f32_e32 v10, v8, v5
	v_fma_f32 v0, -0.5, v4, v0
	v_add_f32_e32 v4, v7, v24
	v_add_f32_e32 v7, v1, v8
	v_fma_f32 v1, -0.5, v6, v1
	v_sub_f32_e32 v8, v22, v24
	v_fmamk_f32 v6, v10, 0xbf5db3d7, v0
	v_fmac_f32_e32 v0, 0x3f5db3d7, v10
	v_dual_add_f32 v10, v9, v23 :: v_dual_add_f32 v5, v7, v5
	s_delay_alu instid0(VALU_DEP_4) | instskip(SKIP_2) | instid1(VALU_DEP_4)
	v_fmamk_f32 v7, v8, 0x3f5db3d7, v1
	v_dual_fmac_f32 v1, 0xbf5db3d7, v8 :: v_dual_add_f32 v16, v2, v9
	v_add_f32_e32 v19, v11, v26
	v_fma_f32 v2, -0.5, v10, v2
	v_sub_f32_e32 v22, v11, v26
	v_add_f32_e32 v11, v3, v11
	v_add_f32_e32 v8, v16, v23
	v_fmac_f32_e32 v3, -0.5, v19
	v_sub_f32_e32 v16, v9, v23
	v_dual_fmamk_f32 v10, v22, 0xbf5db3d7, v2 :: v_dual_add_f32 v19, v25, v27
	v_fmac_f32_e32 v2, 0x3f5db3d7, v22
	v_dual_add_f32 v9, v11, v26 :: v_dual_add_f32 v22, v14, v25
	v_add_f32_e32 v23, v15, v18
	s_delay_alu instid0(VALU_DEP_4) | instskip(SKIP_4) | instid1(VALU_DEP_2)
	v_fma_f32 v14, -0.5, v19, v14
	v_sub_f32_e32 v19, v18, v17
	v_fmamk_f32 v11, v16, 0x3f5db3d7, v3
	v_dual_fmac_f32 v3, 0xbf5db3d7, v16 :: v_dual_add_f32 v16, v18, v17
	v_dual_sub_f32 v24, v25, v27 :: v_dual_add_f32 v17, v23, v17
	v_dual_fmac_f32 v15, -0.5, v16 :: v_dual_add_f32 v16, v22, v27
	v_fmamk_f32 v18, v19, 0xbf5db3d7, v14
	s_delay_alu instid0(VALU_DEP_2)
	v_dual_fmac_f32 v14, 0x3f5db3d7, v19 :: v_dual_fmamk_f32 v19, v24, 0x3f5db3d7, v15
	v_fmac_f32_e32 v15, 0xbf5db3d7, v24
	ds_store_2addr_b64 v85, v[4:5], v[8:9] offset1:195
	ds_store_2addr_b64 v20, v[6:7], v[10:11] offset0:10 offset1:205
	ds_store_2addr_b64 v21, v[0:1], v[2:3] offset0:20 offset1:215
	ds_store_b64 v85, v[16:17] offset:3120
	ds_store_b64 v85, v[18:19] offset:8320
	ds_store_b64 v85, v[14:15] offset:13520
	s_and_saveexec_b32 s1, s0
	s_cbranch_execz .LBB0_21
; %bb.20:
	v_dual_mul_f32 v0, v33, v79 :: v_dual_mul_f32 v1, v35, v77
	s_delay_alu instid0(VALU_DEP_1) | instskip(NEXT) | instid1(VALU_DEP_2)
	v_fma_f32 v0, v32, v80, -v0
	v_fma_f32 v3, v34, v78, -v1
	v_mul_f32_e32 v2, v33, v80
	s_delay_alu instid0(VALU_DEP_3) | instskip(NEXT) | instid1(VALU_DEP_1)
	v_dual_mul_f32 v4, v35, v78 :: v_dual_add_f32 v7, v13, v0
	v_dual_add_f32 v1, v0, v3 :: v_dual_fmac_f32 v4, v34, v77
	s_delay_alu instid0(VALU_DEP_1) | instskip(NEXT) | instid1(VALU_DEP_4)
	v_fma_f32 v1, -0.5, v1, v13
	v_fmac_f32_e32 v2, v32, v79
	v_sub_f32_e32 v8, v0, v3
	s_delay_alu instid0(VALU_DEP_2) | instskip(SKIP_1) | instid1(VALU_DEP_1)
	v_dual_add_f32 v3, v7, v3 :: v_dual_sub_f32 v6, v2, v4
	v_add_f32_e32 v5, v2, v4
	v_fma_f32 v0, -0.5, v5, v12
	s_delay_alu instid0(VALU_DEP_3) | instskip(NEXT) | instid1(VALU_DEP_1)
	v_dual_fmamk_f32 v5, v6, 0xbf5db3d7, v1 :: v_dual_add_f32 v2, v12, v2
	v_dual_fmac_f32 v1, 0x3f5db3d7, v6 :: v_dual_add_f32 v2, v2, v4
	s_delay_alu instid0(VALU_DEP_3)
	v_fmamk_f32 v4, v8, 0x3f5db3d7, v0
	v_fmac_f32_e32 v0, 0xbf5db3d7, v8
	ds_store_b64 v85, v[2:3] offset:4680
	ds_store_b64 v85, v[0:1] offset:9880
	;; [unrolled: 1-line block ×3, first 2 shown]
.LBB0_21:
	s_or_b32 exec_lo, exec_lo, s1
	s_waitcnt lgkmcnt(0)
	s_barrier
	buffer_gl0_inv
	s_and_b32 exec_lo, exec_lo, vcc_lo
	s_cbranch_execz .LBB0_23
; %bb.22:
	s_clause 0x3
	global_load_b64 v[24:25], v83, s[14:15]
	global_load_b64 v[26:27], v83, s[14:15] offset:1200
	global_load_b64 v[28:29], v83, s[14:15] offset:2400
	;; [unrolled: 1-line block ×3, first 2 shown]
	v_add_co_u32 v4, s0, s14, v83
	s_delay_alu instid0(VALU_DEP_1) | instskip(SKIP_1) | instid1(VALU_DEP_3)
	v_add_co_ci_u32_e64 v5, null, s15, 0, s0
	v_mad_u64_u32 v[12:13], null, s6, v72, 0
	v_add_co_u32 v0, vcc_lo, 0x1000, v4
	s_delay_alu instid0(VALU_DEP_3)
	v_add_co_ci_u32_e32 v1, vcc_lo, 0, v5, vcc_lo
	v_add_co_u32 v2, vcc_lo, 0x2000, v4
	v_add_co_ci_u32_e32 v3, vcc_lo, 0, v5, vcc_lo
	v_add_co_u32 v42, vcc_lo, 0x3000, v4
	v_add_co_ci_u32_e32 v43, vcc_lo, 0, v5, vcc_lo
	s_clause 0x7
	global_load_b64 v[32:33], v[0:1], off offset:704
	global_load_b64 v[34:35], v[0:1], off offset:1904
	;; [unrolled: 1-line block ×8, first 2 shown]
	v_dual_mov_b32 v0, v13 :: v_dual_add_nc_u32 v1, 0x400, v83
	ds_load_b64 v[52:53], v85
	v_mad_u64_u32 v[50:51], null, s4, v84, 0
	v_add_nc_u32_e32 v5, 0xc00, v83
	v_mad_u64_u32 v[8:9], null, s7, v72, v[0:1]
	ds_load_2addr_b64 v[0:3], v1 offset0:22 offset1:172
	v_add_nc_u32_e32 v9, 0x1600, v83
	v_add_nc_u32_e32 v16, 0x2800, v83
	v_mov_b32_e32 v4, v51
	s_mul_i32 s0, s5, 0x4b0
	s_mul_hi_u32 s1, s4, 0x4b0
	v_mov_b32_e32 v13, v8
	s_add_i32 s3, s1, s0
	v_mad_u64_u32 v[14:15], null, s5, v84, v[4:5]
	ds_load_2addr_b64 v[4:7], v5 offset0:66 offset1:216
	v_add_nc_u32_e32 v15, 0x2000, v83
	v_add_nc_u32_e32 v20, 0x3200, v83
	v_lshlrev_b64 v[54:55], 3, v[12:13]
	s_mov_b32 s0, 0xaa677344
	s_mov_b32 s1, 0x3f40cdd9
	v_mov_b32_e32 v51, v14
	s_mul_i32 s2, s4, 0x4b0
	s_delay_alu instid0(VALU_DEP_2) | instskip(NEXT) | instid1(VALU_DEP_2)
	v_add_co_u32 v54, vcc_lo, s12, v54
	v_lshlrev_b64 v[50:51], 3, v[50:51]
	v_add_co_ci_u32_e32 v55, vcc_lo, s13, v55, vcc_lo
	s_delay_alu instid0(VALU_DEP_2) | instskip(NEXT) | instid1(VALU_DEP_2)
	v_add_co_u32 v50, vcc_lo, v54, v50
	v_add_co_ci_u32_e32 v51, vcc_lo, v55, v51, vcc_lo
	s_delay_alu instid0(VALU_DEP_2) | instskip(NEXT) | instid1(VALU_DEP_2)
	v_add_co_u32 v54, vcc_lo, v50, s2
	v_add_co_ci_u32_e32 v55, vcc_lo, s3, v51, vcc_lo
	s_waitcnt vmcnt(11) lgkmcnt(2)
	v_mul_f32_e32 v56, v53, v25
	ds_load_2addr_b64 v[8:11], v9 offset0:46 offset1:196
	s_waitcnt vmcnt(9) lgkmcnt(2)
	v_mul_f32_e32 v58, v3, v29
	ds_load_2addr_b64 v[12:15], v15 offset0:26 offset1:176
	ds_load_2addr_b64 v[16:19], v16 offset0:70 offset1:220
	;; [unrolled: 1-line block ×3, first 2 shown]
	v_mul_f32_e32 v25, v52, v25
	v_dual_mul_f32 v57, v1, v27 :: v_dual_fmac_f32 v56, v52, v24
	v_mul_f32_e32 v27, v0, v27
	s_waitcnt vmcnt(8) lgkmcnt(4)
	v_dual_mul_f32 v59, v5, v31 :: v_dual_fmac_f32 v58, v2, v28
	v_mul_f32_e32 v31, v4, v31
	v_fma_f32 v24, v24, v53, -v25
	v_fmac_f32_e32 v57, v0, v26
	v_fma_f32 v25, v26, v1, -v27
	v_cvt_f64_f32_e32 v[0:1], v56
	v_mul_f32_e32 v29, v2, v29
	v_cvt_f64_f32_e32 v[26:27], v58
	s_waitcnt vmcnt(7)
	v_mul_f32_e32 v56, v7, v33
	v_mul_f32_e32 v33, v6, v33
	s_waitcnt vmcnt(5) lgkmcnt(3)
	v_mul_f32_e32 v58, v11, v37
	s_waitcnt vmcnt(1) lgkmcnt(1)
	v_dual_mul_f32 v62, v19, v47 :: v_dual_fmac_f32 v59, v4, v30
	v_mul_f32_e32 v60, v15, v41
	v_fma_f32 v52, v30, v5, -v31
	v_fmac_f32_e32 v58, v10, v36
	v_fmac_f32_e32 v56, v6, v32
	v_cvt_f64_f32_e32 v[4:5], v57
	v_dual_mul_f32 v57, v9, v35 :: v_dual_fmac_f32 v60, v14, v40
	v_dual_mul_f32 v35, v8, v35 :: v_dual_fmac_f32 v62, v18, v46
	v_mul_f32_e32 v37, v10, v37
	v_fma_f32 v28, v28, v3, -v29
	v_cvt_f64_f32_e32 v[30:31], v59
	v_mul_f32_e32 v59, v13, v39
	v_mul_f32_e32 v39, v12, v39
	;; [unrolled: 1-line block ×5, first 2 shown]
	v_fma_f32 v32, v32, v7, -v33
	v_cvt_f64_f32_e32 v[2:3], v24
	v_mul_f32_e32 v47, v18, v47
	v_fmac_f32_e32 v57, v8, v34
	v_fma_f32 v33, v34, v9, -v35
	v_cvt_f64_f32_e32 v[24:25], v25
	s_waitcnt vmcnt(0) lgkmcnt(0)
	v_mul_f32_e32 v63, v21, v49
	v_mul_f32_e32 v49, v20, v49
	v_fma_f32 v34, v36, v11, -v37
	v_cvt_f64_f32_e32 v[28:29], v28
	v_fmac_f32_e32 v59, v12, v38
	v_fma_f32 v35, v38, v13, -v39
	v_cvt_f64_f32_e32 v[52:53], v52
	v_fma_f32 v36, v40, v15, -v41
	v_fmac_f32_e32 v61, v16, v44
	v_fma_f32 v38, v44, v17, -v45
	v_cvt_f64_f32_e32 v[6:7], v56
	v_cvt_f64_f32_e32 v[8:9], v32
	v_fma_f32 v44, v46, v19, -v47
	v_cvt_f64_f32_e32 v[10:11], v57
	v_cvt_f64_f32_e32 v[12:13], v33
	v_fmac_f32_e32 v63, v20, v48
	v_fma_f32 v48, v48, v21, -v49
	v_cvt_f64_f32_e32 v[14:15], v58
	v_cvt_f64_f32_e32 v[16:17], v34
	;; [unrolled: 1-line block ×12, first 2 shown]
	v_mul_f64 v[0:1], v[0:1], s[0:1]
	v_mul_f64 v[4:5], v[4:5], s[0:1]
	;; [unrolled: 1-line block ×5, first 2 shown]
	v_add_co_u32 v56, vcc_lo, v54, s2
	v_add_co_ci_u32_e32 v57, vcc_lo, s3, v55, vcc_lo
	v_mul_f64 v[24:25], v[24:25], s[0:1]
	s_delay_alu instid0(VALU_DEP_3) | instskip(SKIP_1) | instid1(VALU_DEP_4)
	v_add_co_u32 v58, vcc_lo, v56, s2
	v_mul_f64 v[28:29], v[28:29], s[0:1]
	v_add_co_ci_u32_e32 v59, vcc_lo, s3, v57, vcc_lo
	v_mul_f64 v[52:53], v[52:53], s[0:1]
	s_delay_alu instid0(VALU_DEP_4) | instskip(NEXT) | instid1(VALU_DEP_3)
	v_add_co_u32 v60, vcc_lo, v58, s2
	v_add_co_ci_u32_e32 v61, vcc_lo, s3, v59, vcc_lo
	v_mul_f64 v[6:7], v[6:7], s[0:1]
	v_mul_f64 v[8:9], v[8:9], s[0:1]
	;; [unrolled: 1-line block ×4, first 2 shown]
	v_add_co_u32 v62, vcc_lo, v60, s2
	v_mul_f64 v[14:15], v[14:15], s[0:1]
	v_mul_f64 v[16:17], v[16:17], s[0:1]
	;; [unrolled: 1-line block ×12, first 2 shown]
	v_cvt_f32_f64_e32 v0, v[0:1]
	v_add_co_ci_u32_e32 v63, vcc_lo, s3, v61, vcc_lo
	v_cvt_f32_f64_e32 v1, v[2:3]
	v_cvt_f32_f64_e32 v2, v[4:5]
	;; [unrolled: 1-line block ×3, first 2 shown]
	v_add_co_u32 v26, vcc_lo, v62, s2
	v_cvt_f32_f64_e32 v3, v[24:25]
	v_cvt_f32_f64_e32 v24, v[30:31]
	v_add_co_ci_u32_e32 v27, vcc_lo, s3, v63, vcc_lo
	v_cvt_f32_f64_e32 v5, v[28:29]
	v_add_co_u32 v28, vcc_lo, v26, s2
	v_cvt_f32_f64_e32 v25, v[52:53]
	s_delay_alu instid0(VALU_DEP_4) | instskip(NEXT) | instid1(VALU_DEP_3)
	v_add_co_ci_u32_e32 v29, vcc_lo, s3, v27, vcc_lo
	v_add_co_u32 v30, vcc_lo, v28, s2
	v_cvt_f32_f64_e32 v6, v[6:7]
	v_cvt_f32_f64_e32 v7, v[8:9]
	;; [unrolled: 1-line block ×4, first 2 shown]
	v_add_co_ci_u32_e32 v31, vcc_lo, s3, v29, vcc_lo
	v_cvt_f32_f64_e32 v10, v[14:15]
	v_cvt_f32_f64_e32 v11, v[16:17]
	;; [unrolled: 1-line block ×12, first 2 shown]
	v_add_co_u32 v32, vcc_lo, v30, s2
	v_add_co_ci_u32_e32 v33, vcc_lo, s3, v31, vcc_lo
	s_delay_alu instid0(VALU_DEP_2) | instskip(NEXT) | instid1(VALU_DEP_2)
	v_add_co_u32 v34, vcc_lo, v32, s2
	v_add_co_ci_u32_e32 v35, vcc_lo, s3, v33, vcc_lo
	s_delay_alu instid0(VALU_DEP_2) | instskip(NEXT) | instid1(VALU_DEP_2)
	v_add_co_u32 v36, vcc_lo, v34, s2
	v_add_co_ci_u32_e32 v37, vcc_lo, s3, v35, vcc_lo
	s_clause 0x4
	global_store_b64 v[50:51], v[0:1], off
	global_store_b64 v[54:55], v[2:3], off
	;; [unrolled: 1-line block ×12, first 2 shown]
	global_load_b64 v[0:1], v[42:43], off offset:2112
	s_waitcnt vmcnt(0)
	v_mul_f32_e32 v2, v23, v1
	v_mul_f32_e32 v1, v22, v1
	s_delay_alu instid0(VALU_DEP_2) | instskip(NEXT) | instid1(VALU_DEP_2)
	v_fmac_f32_e32 v2, v22, v0
	v_fma_f32 v3, v0, v23, -v1
	s_delay_alu instid0(VALU_DEP_2) | instskip(NEXT) | instid1(VALU_DEP_2)
	v_cvt_f64_f32_e32 v[0:1], v2
	v_cvt_f64_f32_e32 v[2:3], v3
	s_delay_alu instid0(VALU_DEP_2) | instskip(NEXT) | instid1(VALU_DEP_2)
	v_mul_f64 v[0:1], v[0:1], s[0:1]
	v_mul_f64 v[2:3], v[2:3], s[0:1]
	s_delay_alu instid0(VALU_DEP_2) | instskip(NEXT) | instid1(VALU_DEP_2)
	v_cvt_f32_f64_e32 v0, v[0:1]
	v_cvt_f32_f64_e32 v1, v[2:3]
	v_add_co_u32 v2, vcc_lo, v36, s2
	v_add_co_ci_u32_e32 v3, vcc_lo, s3, v37, vcc_lo
	global_store_b64 v[2:3], v[0:1], off
.LBB0_23:
	s_nop 0
	s_sendmsg sendmsg(MSG_DEALLOC_VGPRS)
	s_endpgm
	.section	.rodata,"a",@progbits
	.p2align	6, 0x0
	.amdhsa_kernel bluestein_single_fwd_len1950_dim1_sp_op_CI_CI
		.amdhsa_group_segment_fixed_size 15600
		.amdhsa_private_segment_fixed_size 0
		.amdhsa_kernarg_size 104
		.amdhsa_user_sgpr_count 15
		.amdhsa_user_sgpr_dispatch_ptr 0
		.amdhsa_user_sgpr_queue_ptr 0
		.amdhsa_user_sgpr_kernarg_segment_ptr 1
		.amdhsa_user_sgpr_dispatch_id 0
		.amdhsa_user_sgpr_private_segment_size 0
		.amdhsa_wavefront_size32 1
		.amdhsa_uses_dynamic_stack 0
		.amdhsa_enable_private_segment 0
		.amdhsa_system_sgpr_workgroup_id_x 1
		.amdhsa_system_sgpr_workgroup_id_y 0
		.amdhsa_system_sgpr_workgroup_id_z 0
		.amdhsa_system_sgpr_workgroup_info 0
		.amdhsa_system_vgpr_workitem_id 0
		.amdhsa_next_free_vgpr 203
		.amdhsa_next_free_sgpr 16
		.amdhsa_reserve_vcc 1
		.amdhsa_float_round_mode_32 0
		.amdhsa_float_round_mode_16_64 0
		.amdhsa_float_denorm_mode_32 3
		.amdhsa_float_denorm_mode_16_64 3
		.amdhsa_dx10_clamp 1
		.amdhsa_ieee_mode 1
		.amdhsa_fp16_overflow 0
		.amdhsa_workgroup_processor_mode 1
		.amdhsa_memory_ordered 1
		.amdhsa_forward_progress 0
		.amdhsa_shared_vgpr_count 0
		.amdhsa_exception_fp_ieee_invalid_op 0
		.amdhsa_exception_fp_denorm_src 0
		.amdhsa_exception_fp_ieee_div_zero 0
		.amdhsa_exception_fp_ieee_overflow 0
		.amdhsa_exception_fp_ieee_underflow 0
		.amdhsa_exception_fp_ieee_inexact 0
		.amdhsa_exception_int_div_zero 0
	.end_amdhsa_kernel
	.text
.Lfunc_end0:
	.size	bluestein_single_fwd_len1950_dim1_sp_op_CI_CI, .Lfunc_end0-bluestein_single_fwd_len1950_dim1_sp_op_CI_CI
                                        ; -- End function
	.section	.AMDGPU.csdata,"",@progbits
; Kernel info:
; codeLenInByte = 16804
; NumSgprs: 18
; NumVgprs: 203
; ScratchSize: 0
; MemoryBound: 0
; FloatMode: 240
; IeeeMode: 1
; LDSByteSize: 15600 bytes/workgroup (compile time only)
; SGPRBlocks: 2
; VGPRBlocks: 25
; NumSGPRsForWavesPerEU: 18
; NumVGPRsForWavesPerEU: 203
; Occupancy: 7
; WaveLimiterHint : 1
; COMPUTE_PGM_RSRC2:SCRATCH_EN: 0
; COMPUTE_PGM_RSRC2:USER_SGPR: 15
; COMPUTE_PGM_RSRC2:TRAP_HANDLER: 0
; COMPUTE_PGM_RSRC2:TGID_X_EN: 1
; COMPUTE_PGM_RSRC2:TGID_Y_EN: 0
; COMPUTE_PGM_RSRC2:TGID_Z_EN: 0
; COMPUTE_PGM_RSRC2:TIDIG_COMP_CNT: 0
	.text
	.p2alignl 7, 3214868480
	.fill 96, 4, 3214868480
	.type	__hip_cuid_404fbf39c1cb1db1,@object ; @__hip_cuid_404fbf39c1cb1db1
	.section	.bss,"aw",@nobits
	.globl	__hip_cuid_404fbf39c1cb1db1
__hip_cuid_404fbf39c1cb1db1:
	.byte	0                               ; 0x0
	.size	__hip_cuid_404fbf39c1cb1db1, 1

	.ident	"AMD clang version 19.0.0git (https://github.com/RadeonOpenCompute/llvm-project roc-6.4.0 25133 c7fe45cf4b819c5991fe208aaa96edf142730f1d)"
	.section	".note.GNU-stack","",@progbits
	.addrsig
	.addrsig_sym __hip_cuid_404fbf39c1cb1db1
	.amdgpu_metadata
---
amdhsa.kernels:
  - .args:
      - .actual_access:  read_only
        .address_space:  global
        .offset:         0
        .size:           8
        .value_kind:     global_buffer
      - .actual_access:  read_only
        .address_space:  global
        .offset:         8
        .size:           8
        .value_kind:     global_buffer
      - .actual_access:  read_only
        .address_space:  global
        .offset:         16
        .size:           8
        .value_kind:     global_buffer
      - .actual_access:  read_only
        .address_space:  global
        .offset:         24
        .size:           8
        .value_kind:     global_buffer
      - .actual_access:  read_only
        .address_space:  global
        .offset:         32
        .size:           8
        .value_kind:     global_buffer
      - .offset:         40
        .size:           8
        .value_kind:     by_value
      - .address_space:  global
        .offset:         48
        .size:           8
        .value_kind:     global_buffer
      - .address_space:  global
        .offset:         56
        .size:           8
        .value_kind:     global_buffer
      - .address_space:  global
        .offset:         64
        .size:           8
        .value_kind:     global_buffer
      - .address_space:  global
        .offset:         72
        .size:           8
        .value_kind:     global_buffer
      - .offset:         80
        .size:           4
        .value_kind:     by_value
      - .address_space:  global
        .offset:         88
        .size:           8
        .value_kind:     global_buffer
      - .address_space:  global
        .offset:         96
        .size:           8
        .value_kind:     global_buffer
    .group_segment_fixed_size: 15600
    .kernarg_segment_align: 8
    .kernarg_segment_size: 104
    .language:       OpenCL C
    .language_version:
      - 2
      - 0
    .max_flat_workgroup_size: 195
    .name:           bluestein_single_fwd_len1950_dim1_sp_op_CI_CI
    .private_segment_fixed_size: 0
    .sgpr_count:     18
    .sgpr_spill_count: 0
    .symbol:         bluestein_single_fwd_len1950_dim1_sp_op_CI_CI.kd
    .uniform_work_group_size: 1
    .uses_dynamic_stack: false
    .vgpr_count:     203
    .vgpr_spill_count: 0
    .wavefront_size: 32
    .workgroup_processor_mode: 1
amdhsa.target:   amdgcn-amd-amdhsa--gfx1100
amdhsa.version:
  - 1
  - 2
...

	.end_amdgpu_metadata
